;; amdgpu-corpus repo=FlagOpen/FlagGems kind=triton arch=gfx950 opt=O3 lang=triton
	.amdgcn_target "amdgcn-amd-amdhsa--gfx950"
	.amdhsa_code_object_version 5
	.text
	.globl	mm_kernel_syrk                  ; -- Begin function mm_kernel_syrk
	.p2align	8
	.type	mm_kernel_syrk,@function
mm_kernel_syrk:                         ; @mm_kernel_syrk
.Lfunc_begin0:
	.cfi_sections .debug_frame
	.cfi_startproc
; %bb.179:
	.file	1 "/root/src/amdgpu-assembly/repos/FlagOpen__FlagGems/triton_aot_kernels" "mm_aot.py"
	.loc	1 98 0 prologue_end             ; mm_aot.py:98:0
	s_load_dwordx2 s[2:3], s[0:1], 0x0
	s_load_dwordx8 s[4:11], s[0:1], 0x8
	s_load_dwordx4 s[12:15], s[0:1], 0x28
	s_waitcnt lgkmcnt(0)
	s_branch .LBB0_0
	.loc	1 0 0 is_stmt 0                 ; :0:0
.Ltmp0:
	.p2align	8
; %bb.180:
.LBB0_0:
.Ltmp1:
	.loc	1 121 19 is_stmt 1              ; mm_aot.py:121:19
	v_cvt_f32_i32_e32 v1, s16
	v_mov_b32_e32 v2, 1.0
	.loc	1 161 26                        ; mm_aot.py:161:26
	v_readfirstlane_b32 s25, v0
	s_and_b32 s13, s25, 0xc0
	.loc	1 122 44                        ; mm_aot.py:122:44
	v_fmamk_f32 v1, v1, 0x41000000, v2
	.loc	1 122 30 is_stmt 0              ; mm_aot.py:122:30
	v_sqrt_f32_e32 v1, v1
	.loc	1 130 40 is_stmt 1              ; mm_aot.py:130:40
	v_and_b32_e32 v52, 63, v0
	v_and_b32_e32 v53, 31, v0
	v_mov_b32_e32 v12, 0
	.loc	1 122 51                        ; mm_aot.py:122:51
	v_add_f32_e32 v1, -1.0, v1
	.loc	1 122 58 is_stmt 0              ; mm_aot.py:122:58
	v_mul_f32_e32 v1, 0.5, v1
	.loc	1 122 21                        ; mm_aot.py:122:21
	v_floor_f32_e32 v1, v1
	.loc	1 122 66                        ; mm_aot.py:122:66
	v_cvt_i32_f32_e32 v1, v1
	v_mov_b32_e32 v13, 0
	.loc	1 123 33 is_stmt 1              ; mm_aot.py:123:33
	v_readfirstlane_b32 s0, v1
	s_add_i32 s1, s0, 1
	.loc	1 123 25 is_stmt 0              ; mm_aot.py:123:25
	s_mul_i32 s1, s1, s0
	.loc	1 123 39                        ; mm_aot.py:123:39
	s_lshr_b32 s12, s1, 31
	s_add_i32 s1, s1, s12
	s_ashr_i32 s1, s1, 1
	.loc	1 124 33 is_stmt 1              ; mm_aot.py:124:33
	s_cmp_gt_i32 s1, s16
	.loc	1 124 49 is_stmt 0              ; mm_aot.py:124:49
	s_subb_u32 s0, s0, 0
	.loc	1 125 30 is_stmt 1              ; mm_aot.py:125:30
	s_add_i32 s1, s0, 1
	.loc	1 125 44 is_stmt 0              ; mm_aot.py:125:44
	s_add_i32 s12, s0, 2
	.loc	1 125 36                        ; mm_aot.py:125:36
	s_mul_i32 s12, s1, s12
	.loc	1 125 50                        ; mm_aot.py:125:50
	s_lshr_b32 s14, s12, 31
	s_add_i32 s12, s12, s14
	s_ashr_i32 s12, s12, 1
	.loc	1 126 39 is_stmt 1              ; mm_aot.py:126:39
	s_cmp_gt_i32 s12, s16
	.loc	1 126 55 is_stmt 0              ; mm_aot.py:126:55
	s_cselect_b32 s14, s0, s1
	.loc	1 132 48 is_stmt 1              ; mm_aot.py:132:48
	s_abs_i32 s17, s6
	v_cvt_f32_u32_e32 v2, s17
	.loc	1 127 33                        ; mm_aot.py:127:33
	s_add_i32 s0, s14, 1
	.loc	1 127 25 is_stmt 0              ; mm_aot.py:127:25
	s_mul_i32 s0, s0, s14
	.loc	1 127 39                        ; mm_aot.py:127:39
	s_lshr_b32 s1, s0, 31
	.loc	1 132 48 is_stmt 1              ; mm_aot.py:132:48
	v_rcp_iflag_f32_e32 v2, v2
	.loc	1 127 39                        ; mm_aot.py:127:39
	s_add_i32 s0, s0, s1
	s_ashr_i32 s0, s0, 1
	.loc	1 130 40                        ; mm_aot.py:130:40
	v_or_b32_e32 v1, s13, v52
	.loc	1 132 48                        ; mm_aot.py:132:48
	v_mul_f32_e32 v2, 0x4f7ffffe, v2
	v_cvt_u32_f32_e32 v2, v2
	.loc	1 128 18                        ; mm_aot.py:128:18
	s_sub_i32 s16, s16, s0
	.loc	1 130 17                        ; mm_aot.py:130:17
	s_lshl_b32 s15, s14, 6
	.loc	1 130 40 is_stmt 0              ; mm_aot.py:130:40
	v_lshrrev_b32_e32 v3, 5, v1
	.loc	1 132 48 is_stmt 1              ; mm_aot.py:132:48
	s_sub_i32 s0, 0, s17
	.loc	1 130 27                        ; mm_aot.py:130:27
	v_or_b32_e32 v3, s15, v3
	.loc	1 132 48                        ; mm_aot.py:132:48
	s_bfe_i32 s18, s14, 0x10019
	v_mul_lo_u32 v4, s0, v2
	v_add_u32_e32 v14, s18, v3
	v_mul_hi_u32 v4, v2, v4
	v_xor_b32_e32 v3, s18, v14
	v_add_u32_e32 v15, v2, v4
	v_mul_hi_u32 v2, v3, v15
	v_mul_lo_u32 v2, v2, s17
	v_sub_u32_e32 v2, v3, v2
	v_subrev_u32_e32 v3, s17, v2
	v_cmp_le_u32_e32 vcc, s17, v2
	v_add_u32_e32 v4, 40, v14
	s_nop 0
	v_cndmask_b32_e32 v2, v2, v3, vcc
	v_subrev_u32_e32 v3, s17, v2
	v_cmp_le_u32_e32 vcc, s17, v2
	s_nop 1
	v_cndmask_b32_e32 v2, v2, v3, vcc
	v_add_u32_e32 v3, 8, v14
	v_xor_b32_e32 v2, s18, v2
	v_xor_b32_e32 v20, s18, v3
	v_add_u32_e32 v3, 16, v14
	v_subrev_u32_e32 v2, s18, v2
	v_xor_b32_e32 v22, s18, v3
	v_add_u32_e32 v3, 24, v14
	v_xor_b32_e32 v24, s18, v3
	v_add_u32_e32 v3, 32, v14
	.loc	1 142 32                        ; mm_aot.py:142:32
	v_mad_i64_i32 v[18:19], s[0:1], v2, s8, 0
	.loc	1 132 48                        ; mm_aot.py:132:48
	v_mad_u64_u32 v[8:9], s[0:1], v20, v15, 0
	v_mad_u64_u32 v[10:11], s[0:1], v22, v15, 0
	;; [unrolled: 1-line block ×3, first 2 shown]
	v_xor_b32_e32 v17, s18, v3
	.loc	1 140 22                        ; mm_aot.py:140:22
	v_cmp_gt_i32_e32 vcc, s7, v53
	.loc	1 142 58                        ; mm_aot.py:142:58
	v_mad_i64_i32 v[2:3], s[0:1], s9, v53, 0
	v_lshl_add_u64 v[18:19], v[18:19], 2, s[2:3]
	.loc	1 142 12 is_stmt 0              ; mm_aot.py:142:12
	s_and_saveexec_b64 s[0:1], vcc
	s_cbranch_execz .LBB0_2
; %bb.1:
	.loc	1 0 12                          ; mm_aot.py:0:12
	v_lshl_add_u64 v[26:27], v[2:3], 2, v[18:19]
	.loc	1 142 12                        ; mm_aot.py:142:12
	global_load_dword v13, v[26:27], off
.LBB0_2:
	.loc	1 0 12                          ; mm_aot.py:0:12
	s_or_b64 exec, exec, s[0:1]
	v_xor_b32_e32 v16, s18, v4
	v_mad_u64_u32 v[4:5], s[0:1], v17, v15, 0
	.loc	1 132 48 is_stmt 1              ; mm_aot.py:132:48
	v_mul_lo_u32 v4, v9, s17
	v_sub_u32_e32 v4, v20, v4
	v_subrev_u32_e32 v8, s17, v4
	v_cmp_le_u32_e64 s[0:1], s17, v4
	s_lshl_b32 s12, s16, 6
	.loc	1 0 0 is_stmt 0                 ; mm_aot.py:0
	v_add_u32_e32 v6, 48, v14
	.loc	1 132 48                        ; mm_aot.py:132:48
	v_cndmask_b32_e64 v4, v4, v8, s[0:1]
	v_subrev_u32_e32 v8, s17, v4
	v_cmp_le_u32_e64 s[0:1], s17, v4
	s_nop 1
	v_cndmask_b32_e64 v4, v4, v8, s[0:1]
	v_xor_b32_e32 v4, s18, v4
	v_subrev_u32_e32 v4, s18, v4
	.loc	1 142 32 is_stmt 1              ; mm_aot.py:142:32
	v_mad_i64_i32 v[8:9], s[0:1], v4, s8, 0
	.loc	1 142 17 is_stmt 0              ; mm_aot.py:142:17
	v_lshl_add_u64 v[20:21], v[8:9], 2, s[2:3]
	.loc	1 142 12                        ; mm_aot.py:142:12
	s_and_saveexec_b64 s[0:1], vcc
	s_cbranch_execz .LBB0_4
; %bb.3:
	.loc	1 142 17                        ; mm_aot.py:142:17
	v_lshl_add_u64 v[8:9], v[2:3], 2, v[20:21]
	.loc	1 142 12                        ; mm_aot.py:142:12
	global_load_dword v12, v[8:9], off
.LBB0_4:
	.loc	1 0 12                          ; mm_aot.py:0:12
	s_or_b64 exec, exec, s[0:1]
	v_xor_b32_e32 v30, s18, v6
	.loc	1 132 48 is_stmt 1              ; mm_aot.py:132:48
	v_mul_lo_u32 v6, v11, s17
	.loc	1 0 0 is_stmt 0                 ; mm_aot.py:0
	v_mad_u64_u32 v[8:9], s[0:1], v16, v15, 0
	.loc	1 132 48                        ; mm_aot.py:132:48
	v_sub_u32_e32 v6, v22, v6
	v_subrev_u32_e32 v8, s17, v6
	v_cmp_le_u32_e64 s[0:1], s17, v6
	v_or_b32_e32 v4, s12, v52
	.loc	1 0 0                           ; mm_aot.py:0
	s_bfe_i32 s19, s16, 0x10019
	.loc	1 132 48                        ; mm_aot.py:132:48
	v_cndmask_b32_e64 v6, v6, v8, s[0:1]
	v_subrev_u32_e32 v8, s17, v6
	v_cmp_le_u32_e64 s[0:1], s17, v6
	.loc	1 0 0                           ; mm_aot.py:0
	v_add_u32_e32 v10, 56, v14
	v_mov_b32_e32 v14, 0
	.loc	1 132 48                        ; mm_aot.py:132:48
	v_cndmask_b32_e64 v6, v6, v8, s[0:1]
	v_xor_b32_e32 v6, s18, v6
	v_subrev_u32_e32 v6, s18, v6
	.loc	1 142 32 is_stmt 1              ; mm_aot.py:142:32
	v_mad_i64_i32 v[22:23], s[0:1], v6, s8, 0
	.loc	1 142 17 is_stmt 0              ; mm_aot.py:142:17
	v_lshl_add_u64 v[22:23], v[22:23], 2, s[2:3]
	v_mov_b32_e32 v8, 0
	.loc	1 142 12                        ; mm_aot.py:142:12
	s_and_saveexec_b64 s[0:1], vcc
	s_cbranch_execz .LBB0_6
; %bb.5:
	.loc	1 142 17                        ; mm_aot.py:142:17
	v_lshl_add_u64 v[26:27], v[2:3], 2, v[22:23]
	.loc	1 142 12                        ; mm_aot.py:142:12
	global_load_dword v14, v[26:27], off
.LBB0_6:
	.loc	1 0 12                          ; mm_aot.py:0:12
	s_or_b64 exec, exec, s[0:1]
	.loc	1 132 48 is_stmt 1              ; mm_aot.py:132:48
	v_mul_lo_u32 v6, v7, s17
	.loc	1 0 0 is_stmt 0                 ; mm_aot.py:0
	v_xor_b32_e32 v32, s18, v10
	v_mad_u64_u32 v[10:11], s[0:1], v30, v15, 0
	.loc	1 132 48                        ; mm_aot.py:132:48
	v_sub_u32_e32 v6, v24, v6
	v_subrev_u32_e32 v7, s17, v6
	v_cmp_le_u32_e64 s[0:1], s17, v6
	.loc	1 0 0                           ; mm_aot.py:0
	v_add_u32_e32 v4, s19, v4
	.loc	1 132 48                        ; mm_aot.py:132:48
	s_nop 0
	v_cndmask_b32_e64 v6, v6, v7, s[0:1]
	v_subrev_u32_e32 v7, s17, v6
	v_cmp_le_u32_e64 s[0:1], s17, v6
	s_nop 1
	v_cndmask_b32_e64 v6, v6, v7, s[0:1]
	v_xor_b32_e32 v6, s18, v6
	v_subrev_u32_e32 v6, s18, v6
	.loc	1 142 32 is_stmt 1              ; mm_aot.py:142:32
	v_mad_i64_i32 v[6:7], s[0:1], v6, s8, 0
	.loc	1 142 17 is_stmt 0              ; mm_aot.py:142:17
	v_lshl_add_u64 v[24:25], v[6:7], 2, s[2:3]
	.loc	1 142 12                        ; mm_aot.py:142:12
	s_and_saveexec_b64 s[0:1], vcc
	s_cbranch_execz .LBB0_8
; %bb.7:
	.loc	1 142 17                        ; mm_aot.py:142:17
	v_lshl_add_u64 v[6:7], v[2:3], 2, v[24:25]
	.loc	1 142 12                        ; mm_aot.py:142:12
	global_load_dword v8, v[6:7], off
.LBB0_8:
	.loc	1 0 12                          ; mm_aot.py:0:12
	s_or_b64 exec, exec, s[0:1]
	v_xor_b32_e32 v34, s19, v4
	.loc	1 132 48 is_stmt 1              ; mm_aot.py:132:48
	v_mul_lo_u32 v4, v5, s17
	.loc	1 0 0 is_stmt 0                 ; mm_aot.py:0
	v_mad_u64_u32 v[6:7], s[0:1], v32, v15, 0
	.loc	1 132 48                        ; mm_aot.py:132:48
	v_sub_u32_e32 v4, v17, v4
	v_subrev_u32_e32 v5, s17, v4
	v_cmp_le_u32_e64 s[0:1], s17, v4
	v_mov_b32_e32 v6, 0
	v_mov_b32_e32 v10, 0
	v_cndmask_b32_e64 v4, v4, v5, s[0:1]
	v_subrev_u32_e32 v5, s17, v4
	v_cmp_le_u32_e64 s[0:1], s17, v4
	s_nop 1
	v_cndmask_b32_e64 v4, v4, v5, s[0:1]
	v_xor_b32_e32 v4, s18, v4
	v_subrev_u32_e32 v4, s18, v4
	.loc	1 142 32 is_stmt 1              ; mm_aot.py:142:32
	v_mad_i64_i32 v[4:5], s[0:1], v4, s8, 0
	.loc	1 142 17 is_stmt 0              ; mm_aot.py:142:17
	v_lshl_add_u64 v[26:27], v[4:5], 2, s[2:3]
	.loc	1 142 12                        ; mm_aot.py:142:12
	s_and_saveexec_b64 s[0:1], vcc
	s_cbranch_execz .LBB0_10
; %bb.9:
	.loc	1 142 17                        ; mm_aot.py:142:17
	v_lshl_add_u64 v[4:5], v[2:3], 2, v[26:27]
	.loc	1 142 12                        ; mm_aot.py:142:12
	global_load_dword v10, v[4:5], off
.LBB0_10:
	.loc	1 0 12                          ; mm_aot.py:0:12
	s_or_b64 exec, exec, s[0:1]
	v_mad_u64_u32 v[4:5], s[0:1], v34, v15, 0
	.loc	1 132 48 is_stmt 1              ; mm_aot.py:132:48
	v_mul_lo_u32 v4, v9, s17
	v_sub_u32_e32 v4, v16, v4
	v_subrev_u32_e32 v9, s17, v4
	v_cmp_le_u32_e64 s[0:1], s17, v4
	s_nop 1
	v_cndmask_b32_e64 v4, v4, v9, s[0:1]
	v_subrev_u32_e32 v9, s17, v4
	v_cmp_le_u32_e64 s[0:1], s17, v4
	s_nop 1
	v_cndmask_b32_e64 v4, v4, v9, s[0:1]
	v_xor_b32_e32 v4, s18, v4
	v_subrev_u32_e32 v4, s18, v4
	.loc	1 142 32                        ; mm_aot.py:142:32
	v_mad_i64_i32 v[16:17], s[0:1], v4, s8, 0
	.loc	1 142 17 is_stmt 0              ; mm_aot.py:142:17
	v_lshl_add_u64 v[28:29], v[16:17], 2, s[2:3]
	.loc	1 142 12                        ; mm_aot.py:142:12
	s_and_saveexec_b64 s[0:1], vcc
	s_cbranch_execz .LBB0_12
; %bb.11:
	.loc	1 142 17                        ; mm_aot.py:142:17
	v_lshl_add_u64 v[16:17], v[2:3], 2, v[28:29]
	.loc	1 142 12                        ; mm_aot.py:142:12
	global_load_dword v6, v[16:17], off
.LBB0_12:
	.loc	1 0 12                          ; mm_aot.py:0:12
	s_or_b64 exec, exec, s[0:1]
	.loc	1 132 48 is_stmt 1              ; mm_aot.py:132:48
	v_mul_lo_u32 v4, v11, s17
	v_sub_u32_e32 v4, v30, v4
	v_subrev_u32_e32 v9, s17, v4
	v_cmp_le_u32_e64 s[0:1], s17, v4
	s_nop 1
	v_cndmask_b32_e64 v4, v4, v9, s[0:1]
	v_subrev_u32_e32 v9, s17, v4
	v_cmp_le_u32_e64 s[0:1], s17, v4
	s_nop 1
	v_cndmask_b32_e64 v4, v4, v9, s[0:1]
	v_xor_b32_e32 v4, s18, v4
	v_subrev_u32_e32 v4, s18, v4
	.loc	1 142 32                        ; mm_aot.py:142:32
	v_mad_i64_i32 v[16:17], s[0:1], v4, s8, 0
	.loc	1 142 17 is_stmt 0              ; mm_aot.py:142:17
	v_lshl_add_u64 v[30:31], v[16:17], 2, s[2:3]
	v_mov_b32_e32 v4, 0
	v_mov_b32_e32 v9, 0
	.loc	1 142 12                        ; mm_aot.py:142:12
	s_and_saveexec_b64 s[0:1], vcc
	s_cbranch_execz .LBB0_14
; %bb.13:
	.loc	1 142 17                        ; mm_aot.py:142:17
	v_lshl_add_u64 v[16:17], v[2:3], 2, v[30:31]
	.loc	1 142 12                        ; mm_aot.py:142:12
	global_load_dword v9, v[16:17], off
.LBB0_14:
	.loc	1 0 12                          ; mm_aot.py:0:12
	s_or_b64 exec, exec, s[0:1]
	.loc	1 132 48 is_stmt 1              ; mm_aot.py:132:48
	v_mul_lo_u32 v7, v7, s17
	v_sub_u32_e32 v7, v32, v7
	v_subrev_u32_e32 v11, s17, v7
	v_cmp_le_u32_e64 s[0:1], s17, v7
	s_nop 1
	v_cndmask_b32_e64 v7, v7, v11, s[0:1]
	v_subrev_u32_e32 v11, s17, v7
	v_cmp_le_u32_e64 s[0:1], s17, v7
	s_nop 1
	v_cndmask_b32_e64 v7, v7, v11, s[0:1]
	v_xor_b32_e32 v7, s18, v7
	v_subrev_u32_e32 v7, s18, v7
	.loc	1 142 32                        ; mm_aot.py:142:32
	v_mad_i64_i32 v[16:17], s[0:1], v7, s8, 0
	.loc	1 142 17 is_stmt 0              ; mm_aot.py:142:17
	v_lshl_add_u64 v[32:33], v[16:17], 2, s[2:3]
	.loc	1 142 12                        ; mm_aot.py:142:12
	s_and_saveexec_b64 s[0:1], vcc
	s_cbranch_execz .LBB0_16
; %bb.15:
	.loc	1 142 17                        ; mm_aot.py:142:17
	v_lshl_add_u64 v[2:3], v[2:3], 2, v[32:33]
	.loc	1 142 12                        ; mm_aot.py:142:12
	global_load_dword v4, v[2:3], off
.LBB0_16:
	.loc	1 0 12                          ; mm_aot.py:0:12
	s_or_b64 exec, exec, s[0:1]
	.loc	1 133 48 is_stmt 1              ; mm_aot.py:133:48
	v_mul_lo_u32 v2, v5, s17
	v_sub_u32_e32 v2, v34, v2
	v_subrev_u32_e32 v3, s17, v2
	v_cmp_le_u32_e32 vcc, s17, v2
	.loc	1 130 40                        ; mm_aot.py:130:40
	s_lshr_b32 s23, s13, 6
	.loc	1 140 22                        ; mm_aot.py:140:22
	s_cmp_ge_i32 s23, s7
	.loc	1 133 48                        ; mm_aot.py:133:48
	v_cndmask_b32_e32 v2, v2, v3, vcc
	v_subrev_u32_e32 v3, s17, v2
	v_cmp_le_u32_e32 vcc, s17, v2
	s_nop 1
	v_cndmask_b32_e32 v2, v2, v3, vcc
	v_xor_b32_e32 v2, s19, v2
	v_subrev_u32_e32 v2, s19, v2
	.loc	1 147 58                        ; mm_aot.py:147:58
	v_mad_i64_i32 v[2:3], s[0:1], v2, s8, 0
	.loc	1 147 12 is_stmt 0              ; mm_aot.py:147:12
	s_cbranch_scc1 .LBB0_18
; %bb.17:
	.loc	1 147 31                        ; mm_aot.py:147:31
	s_mul_hi_i32 s1, s23, s9
	s_mul_i32 s0, s23, s9
	.loc	1 147 17                        ; mm_aot.py:147:17
	s_lshl_b64 s[0:1], s[0:1], 2
	s_add_u32 s0, s2, s0
	s_addc_u32 s1, s3, s1
	v_lshl_add_u64 v[16:17], v[2:3], 2, s[0:1]
	.loc	1 147 12                        ; mm_aot.py:147:12
	global_load_dword v5, v[16:17], off
	s_branch .LBB0_19
.LBB0_18:
	.loc	1 0 12                          ; mm_aot.py:0:12
	v_mov_b32_e32 v5, 0
.LBB0_19:
	.loc	1 130 40 is_stmt 1              ; mm_aot.py:130:40
	s_or_b32 s8, s23, 4
	.loc	1 138 31                        ; mm_aot.py:138:31
	s_cmp_gt_i32 s7, 0
	s_cselect_b64 s[0:1], -1, 0
	s_cmp_lt_i32 s7, 1
	s_cselect_b64 s[18:19], -1, 0
	.loc	1 140 22                        ; mm_aot.py:140:22
	s_cmp_ge_i32 s8, s7
	s_cselect_b64 s[20:21], -1, 0
	.loc	1 147 12                        ; mm_aot.py:147:12
	s_or_b64 s[18:19], s[18:19], s[20:21]
	s_and_b64 vcc, exec, s[18:19]
	s_cbranch_vccnz .LBB0_21
; %bb.20:
	.loc	1 147 31 is_stmt 0              ; mm_aot.py:147:31
	s_mul_hi_i32 s19, s8, s9
	s_mul_i32 s18, s8, s9
	.loc	1 147 17                        ; mm_aot.py:147:17
	s_lshl_b64 s[18:19], s[18:19], 2
	s_add_u32 s18, s2, s18
	s_addc_u32 s19, s3, s19
	v_lshl_add_u64 v[16:17], v[2:3], 2, s[18:19]
	.loc	1 147 12                        ; mm_aot.py:147:12
	global_load_dword v7, v[16:17], off
	s_branch .LBB0_22
.LBB0_21:
	.loc	1 0 12                          ; mm_aot.py:0:12
	v_mov_b32_e32 v7, 0
.LBB0_22:
	.loc	1 130 40 is_stmt 1              ; mm_aot.py:130:40
	s_or_b32 s17, s23, 8
	.loc	1 140 22                        ; mm_aot.py:140:22
	s_cmp_ge_i32 s17, s7
	s_cselect_b64 s[18:19], -1, 0
	.loc	1 138 31                        ; mm_aot.py:138:31
	s_xor_b64 s[0:1], s[0:1], -1
	.loc	1 147 12                        ; mm_aot.py:147:12
	s_or_b64 s[18:19], s[0:1], s[18:19]
	s_and_b64 vcc, exec, s[18:19]
	s_cbranch_vccnz .LBB0_24
; %bb.23:
	.loc	1 147 31 is_stmt 0              ; mm_aot.py:147:31
	s_mul_hi_i32 s19, s17, s9
	s_mul_i32 s18, s17, s9
	.loc	1 147 17                        ; mm_aot.py:147:17
	s_lshl_b64 s[18:19], s[18:19], 2
	s_add_u32 s18, s2, s18
	s_addc_u32 s19, s3, s19
	v_lshl_add_u64 v[16:17], v[2:3], 2, s[18:19]
	.loc	1 147 12                        ; mm_aot.py:147:12
	global_load_dword v11, v[16:17], off
	s_branch .LBB0_25
.LBB0_24:
	.loc	1 0 12                          ; mm_aot.py:0:12
	v_mov_b32_e32 v11, 0
.LBB0_25:
	.loc	1 130 40 is_stmt 1              ; mm_aot.py:130:40
	s_or_b32 s18, s23, 12
	.loc	1 140 22                        ; mm_aot.py:140:22
	s_cmp_ge_i32 s18, s7
	s_cselect_b64 s[20:21], -1, 0
	.loc	1 147 12                        ; mm_aot.py:147:12
	s_or_b64 s[20:21], s[0:1], s[20:21]
	s_and_b64 vcc, exec, s[20:21]
	s_cbranch_vccnz .LBB0_27
; %bb.26:
	.loc	1 147 31 is_stmt 0              ; mm_aot.py:147:31
	s_mul_hi_i32 s21, s18, s9
	s_mul_i32 s20, s18, s9
	.loc	1 147 17                        ; mm_aot.py:147:17
	s_lshl_b64 s[20:21], s[20:21], 2
	s_add_u32 s20, s2, s20
	s_addc_u32 s21, s3, s21
	v_lshl_add_u64 v[16:17], v[2:3], 2, s[20:21]
	.loc	1 147 12                        ; mm_aot.py:147:12
	global_load_dword v15, v[16:17], off
	s_branch .LBB0_28
.LBB0_27:
	.loc	1 0 12                          ; mm_aot.py:0:12
	v_mov_b32_e32 v15, 0
.LBB0_28:
	.loc	1 130 40 is_stmt 1              ; mm_aot.py:130:40
	s_or_b32 s19, s23, 16
	.loc	1 140 22                        ; mm_aot.py:140:22
	s_cmp_ge_i32 s19, s7
	s_cselect_b64 s[20:21], -1, 0
	;; [unrolled: 25-line block ×5, first 2 shown]
	.loc	1 147 12                        ; mm_aot.py:147:12
	s_or_b64 s[0:1], s[0:1], s[26:27]
	s_and_b64 vcc, exec, s[0:1]
	s_cbranch_vccnz .LBB0_39
; %bb.38:
	.loc	1 147 31 is_stmt 0              ; mm_aot.py:147:31
	s_mul_hi_i32 s1, s22, s9
	s_mul_i32 s0, s22, s9
	.loc	1 147 17                        ; mm_aot.py:147:17
	s_lshl_b64 s[0:1], s[0:1], 2
	s_add_u32 s0, s2, s0
	s_addc_u32 s1, s3, s1
	v_lshl_add_u64 v[36:37], v[2:3], 2, s[0:1]
	.loc	1 147 12                        ; mm_aot.py:147:12
	global_load_dword v35, v[36:37], off
	s_branch .LBB0_40
.LBB0_39:
	.loc	1 0 12                          ; mm_aot.py:0:12
	v_mov_b32_e32 v35, 0
.LBB0_40:
	.loc	1 142 12 is_stmt 1              ; mm_aot.py:142:12
	v_lshlrev_b32_e32 v36, 2, v1
	s_lshr_b32 s0, s13, 4
	v_xor_b32_e32 v37, s0, v36
	v_add_u32_e32 v56, 0, v37
	.loc	1 130 40                        ; mm_aot.py:130:40
	s_and_b32 s24, s25, 0x80
	v_and_b32_e32 v55, 32, v0
	s_and_b32 s25, s25, 64
	.loc	1 142 12                        ; mm_aot.py:142:12
	s_waitcnt vmcnt(0)
	ds_write2st64_b32 v56, v13, v14 offset1:8
	ds_write2st64_b32 v56, v10, v9 offset0:16 offset1:24
	v_xor_b32_e32 v9, 16, v37
	.loc	1 138 31                        ; mm_aot.py:138:31
	s_sub_i32 s26, s7, 32
	.loc	1 130 40                        ; mm_aot.py:130:40
	v_lshrrev_b32_e32 v54, 3, v55
	.loc	1 142 12                        ; mm_aot.py:142:12
	v_add_u32_e32 v57, 0, v9
	.loc	1 147 12                        ; mm_aot.py:147:12
	v_add_u32_e32 v58, 0, v36
	.loc	1 138 31                        ; mm_aot.py:138:31
	s_cmp_lt_i32 s26, 1
	.loc	1 142 12                        ; mm_aot.py:142:12
	ds_write2st64_b32 v57, v12, v8 offset0:4 offset1:12
	ds_write2st64_b32 v57, v6, v4 offset0:20 offset1:28
	.loc	1 147 12                        ; mm_aot.py:147:12
	ds_write2st64_b32 v58, v5, v7 offset0:32 offset1:36
	ds_write2st64_b32 v58, v11, v15 offset0:40 offset1:44
	;; [unrolled: 1-line block ×4, first 2 shown]
	.loc	1 138 31                        ; mm_aot.py:138:31
	s_cbranch_scc1 .LBB0_66
; %bb.41:                               ; %.lr.ph
	.loc	1 139 24                        ; mm_aot.py:139:24
	v_or_b32_e32 v4, 32, v53
	.loc	1 140 22                        ; mm_aot.py:140:22
	v_cmp_gt_i32_e32 vcc, s7, v4
	.loc	1 142 58                        ; mm_aot.py:142:58
	v_mad_i64_i32 v[4:5], s[0:1], v4, s9, 0
	v_mov_b32_e32 v64, 0
	v_mov_b32_e32 v65, 0
	.loc	1 142 12 is_stmt 0              ; mm_aot.py:142:12
	s_and_saveexec_b64 s[0:1], vcc
	s_cbranch_execz .LBB0_43
; %bb.42:
	.loc	1 0 12                          ; mm_aot.py:0:12
	v_lshl_add_u64 v[6:7], v[4:5], 2, v[18:19]
	.loc	1 142 12                        ; mm_aot.py:142:12
	global_load_dword v65, v[6:7], off
.LBB0_43:
	.loc	1 0 12                          ; mm_aot.py:0:12
	s_or_b64 exec, exec, s[0:1]
	.loc	1 142 12                        ; mm_aot.py:142:12
	s_and_saveexec_b64 s[0:1], vcc
	s_cbranch_execz .LBB0_45
; %bb.44:
	.loc	1 142 17                        ; mm_aot.py:142:17
	v_lshl_add_u64 v[6:7], v[4:5], 2, v[20:21]
	.loc	1 142 12                        ; mm_aot.py:142:12
	global_load_dword v64, v[6:7], off
.LBB0_45:
	.loc	1 0 12                          ; mm_aot.py:0:12
	s_or_b64 exec, exec, s[0:1]
	v_mov_b32_e32 v66, 0
	v_mov_b32_e32 v67, 0
	.loc	1 142 12                        ; mm_aot.py:142:12
	s_and_saveexec_b64 s[0:1], vcc
	s_cbranch_execz .LBB0_47
; %bb.46:
	.loc	1 142 17                        ; mm_aot.py:142:17
	v_lshl_add_u64 v[6:7], v[4:5], 2, v[22:23]
	.loc	1 142 12                        ; mm_aot.py:142:12
	global_load_dword v67, v[6:7], off
.LBB0_47:
	.loc	1 0 12                          ; mm_aot.py:0:12
	s_or_b64 exec, exec, s[0:1]
	.loc	1 142 12                        ; mm_aot.py:142:12
	s_and_saveexec_b64 s[0:1], vcc
	s_cbranch_execz .LBB0_49
; %bb.48:
	.loc	1 142 17                        ; mm_aot.py:142:17
	v_lshl_add_u64 v[6:7], v[4:5], 2, v[24:25]
	.loc	1 142 12                        ; mm_aot.py:142:12
	global_load_dword v66, v[6:7], off
.LBB0_49:
	.loc	1 0 12                          ; mm_aot.py:0:12
	s_or_b64 exec, exec, s[0:1]
	v_mov_b32_e32 v68, 0
	v_mov_b32_e32 v69, 0
	.loc	1 142 12                        ; mm_aot.py:142:12
	s_and_saveexec_b64 s[0:1], vcc
	s_cbranch_execz .LBB0_51
; %bb.50:
	.loc	1 142 17                        ; mm_aot.py:142:17
	v_lshl_add_u64 v[6:7], v[4:5], 2, v[26:27]
	.loc	1 142 12                        ; mm_aot.py:142:12
	global_load_dword v69, v[6:7], off
.LBB0_51:
	;; [unrolled: 24-line block ×3, first 2 shown]
	.loc	1 0 12                          ; mm_aot.py:0:12
	s_or_b64 exec, exec, s[0:1]
	.loc	1 142 12                        ; mm_aot.py:142:12
	s_and_saveexec_b64 s[0:1], vcc
	s_cbranch_execz .LBB0_57
; %bb.56:
	.loc	1 142 17                        ; mm_aot.py:142:17
	v_lshl_add_u64 v[4:5], v[4:5], 2, v[32:33]
	.loc	1 142 12                        ; mm_aot.py:142:12
	global_load_dword v70, v[4:5], off
.LBB0_57:
	.loc	1 0 12                          ; mm_aot.py:0:12
	s_or_b64 exec, exec, s[0:1]
	v_lshlrev_b32_e32 v4, 7, v53
	v_lshlrev_b32_e32 v5, 1, v0
	v_lshl_or_b32 v4, s24, 5, v4
	v_bitop3_b32 v5, v5, v54, 28 bitop3:0x6c
	v_or_b32_e32 v6, v4, v5
	v_bitop3_b32 v7, v4, 8, v5 bitop3:0x36
	v_bitop3_b32 v8, v4, 16, v5 bitop3:0x36
	;; [unrolled: 1-line block ×3, first 2 shown]
	.loc	1 142 12                        ; mm_aot.py:142:12
	v_add_u32_e32 v59, 0, v6
	v_add_u32_e32 v60, 0, v7
	v_add_u32_e32 v61, 0, v8
	v_add_u32_e32 v62, 0, v4
	s_waitcnt lgkmcnt(0)
	s_barrier
	ds_read2_b32 v[44:45], v59 offset1:8
	ds_read2_b32 v[38:39], v59 offset0:16 offset1:24
	ds_read2_b32 v[46:47], v60 offset1:8
	ds_read2_b32 v[40:41], v60 offset0:16 offset1:24
	;; [unrolled: 2-line block ×4, first 2 shown]
	.loc	1 139 24 is_stmt 1              ; mm_aot.py:139:24
	s_or_b32 s0, s23, 32
	.loc	1 140 22                        ; mm_aot.py:140:22
	s_cmp_ge_i32 s0, s7
	.loc	1 138 31                        ; mm_aot.py:138:31
	v_lshl_add_u64 v[34:35], v[2:3], 2, s[2:3]
	.loc	1 147 12                        ; mm_aot.py:147:12
	s_cbranch_scc1 .LBB0_67
; %bb.58:
	.loc	1 147 31 is_stmt 0              ; mm_aot.py:147:31
	s_mul_hi_i32 s1, s0, s9
	s_mul_i32 s0, s0, s9
	.loc	1 147 17                        ; mm_aot.py:147:17
	v_lshl_add_u64 v[2:3], s[0:1], 2, v[34:35]
	.loc	1 147 12                        ; mm_aot.py:147:12
	global_load_dword v72, v[2:3], off
	.loc	1 139 24 is_stmt 1              ; mm_aot.py:139:24
	s_or_b32 s0, s23, 36
	.loc	1 140 22                        ; mm_aot.py:140:22
	s_cmp_ge_i32 s0, s7
	.loc	1 147 12                        ; mm_aot.py:147:12
	s_cbranch_scc0 .LBB0_68
.LBB0_59:
	.loc	1 0 12 is_stmt 0                ; mm_aot.py:0:12
	v_mov_b32_e32 v73, 0
	.loc	1 139 24 is_stmt 1              ; mm_aot.py:139:24
	s_or_b32 s0, s23, 40
	.loc	1 140 22                        ; mm_aot.py:140:22
	s_cmp_ge_i32 s0, s7
	.loc	1 147 12                        ; mm_aot.py:147:12
	s_cbranch_scc0 .LBB0_69
.LBB0_60:
	.loc	1 0 12 is_stmt 0                ; mm_aot.py:0:12
	v_mov_b32_e32 v74, 0
	.loc	1 139 24 is_stmt 1              ; mm_aot.py:139:24
	s_or_b32 s0, s23, 44
	.loc	1 140 22                        ; mm_aot.py:140:22
	s_cmp_ge_i32 s0, s7
	.loc	1 147 12                        ; mm_aot.py:147:12
	s_cbranch_scc0 .LBB0_70
.LBB0_61:
	.loc	1 0 12 is_stmt 0                ; mm_aot.py:0:12
	v_mov_b32_e32 v75, 0
	.loc	1 139 24 is_stmt 1              ; mm_aot.py:139:24
	s_or_b32 s0, s23, 48
	.loc	1 140 22                        ; mm_aot.py:140:22
	s_cmp_ge_i32 s0, s7
	.loc	1 147 12                        ; mm_aot.py:147:12
	s_cbranch_scc0 .LBB0_71
.LBB0_62:
	.loc	1 0 12 is_stmt 0                ; mm_aot.py:0:12
	v_mov_b32_e32 v76, 0
	.loc	1 139 24 is_stmt 1              ; mm_aot.py:139:24
	s_or_b32 s0, s23, 52
	.loc	1 140 22                        ; mm_aot.py:140:22
	s_cmp_ge_i32 s0, s7
	.loc	1 147 12                        ; mm_aot.py:147:12
	s_cbranch_scc0 .LBB0_72
.LBB0_63:
	.loc	1 0 12 is_stmt 0                ; mm_aot.py:0:12
	v_mov_b32_e32 v77, 0
	.loc	1 139 24 is_stmt 1              ; mm_aot.py:139:24
	s_or_b32 s0, s23, 56
	.loc	1 140 22                        ; mm_aot.py:140:22
	s_cmp_ge_i32 s0, s7
	.loc	1 147 12                        ; mm_aot.py:147:12
	s_cbranch_scc0 .LBB0_73
.LBB0_64:
	.loc	1 0 12 is_stmt 0                ; mm_aot.py:0:12
	v_mov_b32_e32 v78, 0
	.loc	1 139 24 is_stmt 1              ; mm_aot.py:139:24
	s_or_b32 s0, s23, 60
	.loc	1 140 22                        ; mm_aot.py:140:22
	s_cmp_ge_i32 s0, s7
	.loc	1 147 12                        ; mm_aot.py:147:12
	s_cbranch_scc0 .LBB0_74
.LBB0_65:
	.loc	1 0 12 is_stmt 0                ; mm_aot.py:0:12
	v_mov_b32_e32 v79, 0
	.loc	1 147 12                        ; mm_aot.py:147:12
	s_branch .LBB0_75
.LBB0_66:
	.loc	1 0 12                          ; mm_aot.py:0:12
	v_mov_b32_e32 v17, 0
	v_mov_b32_e32 v16, v17
	;; [unrolled: 1-line block ×16, first 2 shown]
	.loc	1 138 31 is_stmt 1              ; mm_aot.py:138:31
	s_branch .LBB0_111
.LBB0_67:
	.loc	1 0 31 is_stmt 0                ; mm_aot.py:0:31
	v_mov_b32_e32 v72, 0
	.loc	1 139 24 is_stmt 1              ; mm_aot.py:139:24
	s_or_b32 s0, s23, 36
	.loc	1 140 22                        ; mm_aot.py:140:22
	s_cmp_ge_i32 s0, s7
	.loc	1 147 12                        ; mm_aot.py:147:12
	s_cbranch_scc1 .LBB0_59
.LBB0_68:
	.loc	1 147 31 is_stmt 0              ; mm_aot.py:147:31
	s_mul_hi_i32 s1, s0, s9
	s_mul_i32 s0, s0, s9
	.loc	1 147 17                        ; mm_aot.py:147:17
	v_lshl_add_u64 v[2:3], s[0:1], 2, v[34:35]
	.loc	1 147 12                        ; mm_aot.py:147:12
	global_load_dword v73, v[2:3], off
	.loc	1 139 24 is_stmt 1              ; mm_aot.py:139:24
	s_or_b32 s0, s23, 40
	.loc	1 140 22                        ; mm_aot.py:140:22
	s_cmp_ge_i32 s0, s7
	.loc	1 147 12                        ; mm_aot.py:147:12
	s_cbranch_scc1 .LBB0_60
.LBB0_69:
	.loc	1 147 31 is_stmt 0              ; mm_aot.py:147:31
	s_mul_hi_i32 s1, s0, s9
	s_mul_i32 s0, s0, s9
	.loc	1 147 17                        ; mm_aot.py:147:17
	v_lshl_add_u64 v[2:3], s[0:1], 2, v[34:35]
	.loc	1 147 12                        ; mm_aot.py:147:12
	global_load_dword v74, v[2:3], off
	.loc	1 139 24 is_stmt 1              ; mm_aot.py:139:24
	s_or_b32 s0, s23, 44
	.loc	1 140 22                        ; mm_aot.py:140:22
	s_cmp_ge_i32 s0, s7
	.loc	1 147 12                        ; mm_aot.py:147:12
	s_cbranch_scc1 .LBB0_61
.LBB0_70:
	.loc	1 147 31 is_stmt 0              ; mm_aot.py:147:31
	s_mul_hi_i32 s1, s0, s9
	s_mul_i32 s0, s0, s9
	.loc	1 147 17                        ; mm_aot.py:147:17
	v_lshl_add_u64 v[2:3], s[0:1], 2, v[34:35]
	.loc	1 147 12                        ; mm_aot.py:147:12
	global_load_dword v75, v[2:3], off
	.loc	1 139 24 is_stmt 1              ; mm_aot.py:139:24
	s_or_b32 s0, s23, 48
	.loc	1 140 22                        ; mm_aot.py:140:22
	s_cmp_ge_i32 s0, s7
	.loc	1 147 12                        ; mm_aot.py:147:12
	s_cbranch_scc1 .LBB0_62
.LBB0_71:
	.loc	1 147 31 is_stmt 0              ; mm_aot.py:147:31
	s_mul_hi_i32 s1, s0, s9
	s_mul_i32 s0, s0, s9
	.loc	1 147 17                        ; mm_aot.py:147:17
	v_lshl_add_u64 v[2:3], s[0:1], 2, v[34:35]
	.loc	1 147 12                        ; mm_aot.py:147:12
	global_load_dword v76, v[2:3], off
	.loc	1 139 24 is_stmt 1              ; mm_aot.py:139:24
	s_or_b32 s0, s23, 52
	.loc	1 140 22                        ; mm_aot.py:140:22
	s_cmp_ge_i32 s0, s7
	.loc	1 147 12                        ; mm_aot.py:147:12
	s_cbranch_scc1 .LBB0_63
.LBB0_72:
	.loc	1 147 31 is_stmt 0              ; mm_aot.py:147:31
	s_mul_hi_i32 s1, s0, s9
	s_mul_i32 s0, s0, s9
	.loc	1 147 17                        ; mm_aot.py:147:17
	v_lshl_add_u64 v[2:3], s[0:1], 2, v[34:35]
	.loc	1 147 12                        ; mm_aot.py:147:12
	global_load_dword v77, v[2:3], off
	.loc	1 139 24 is_stmt 1              ; mm_aot.py:139:24
	s_or_b32 s0, s23, 56
	.loc	1 140 22                        ; mm_aot.py:140:22
	s_cmp_ge_i32 s0, s7
	.loc	1 147 12                        ; mm_aot.py:147:12
	s_cbranch_scc1 .LBB0_64
.LBB0_73:
	.loc	1 147 31 is_stmt 0              ; mm_aot.py:147:31
	s_mul_hi_i32 s1, s0, s9
	s_mul_i32 s0, s0, s9
	.loc	1 147 17                        ; mm_aot.py:147:17
	v_lshl_add_u64 v[2:3], s[0:1], 2, v[34:35]
	.loc	1 147 12                        ; mm_aot.py:147:12
	global_load_dword v78, v[2:3], off
	.loc	1 139 24 is_stmt 1              ; mm_aot.py:139:24
	s_or_b32 s0, s23, 60
	.loc	1 140 22                        ; mm_aot.py:140:22
	s_cmp_ge_i32 s0, s7
	.loc	1 147 12                        ; mm_aot.py:147:12
	s_cbranch_scc1 .LBB0_65
.LBB0_74:
	.loc	1 147 31 is_stmt 0              ; mm_aot.py:147:31
	s_mul_hi_i32 s1, s0, s9
	s_mul_i32 s0, s0, s9
	.loc	1 147 17                        ; mm_aot.py:147:17
	v_lshl_add_u64 v[2:3], s[0:1], 2, v[34:35]
	.loc	1 147 12                        ; mm_aot.py:147:12
	global_load_dword v79, v[2:3], off
.LBB0_75:
	s_lshl1_add_u32 s0, s25, 0
	v_lshlrev_b32_e32 v2, 2, v53
	v_lshl_add_u32 v3, v55, 3, s0
	v_add_u32_e32 v63, v3, v2
	ds_read2st64_b32 v[80:81], v63 offset0:32 offset1:34
	s_mov_b32 s2, 0
	.loc	1 138 31 is_stmt 1              ; mm_aot.py:138:31
	s_cmp_lt_u32 s26, 33
	.loc	1 151 25                        ; mm_aot.py:151:25
	s_waitcnt lgkmcnt(0)
	v_mfma_f32_32x32x2_f32 v[2:17], v80, v44, 0
	v_mfma_f32_32x32x2_f32 v[2:17], v81, v46, v[2:17]
	.loc	1 147 12                        ; mm_aot.py:147:12
	ds_read2st64_b32 v[80:81], v63 offset0:36 offset1:38
	.loc	1 151 25                        ; mm_aot.py:151:25
	s_waitcnt lgkmcnt(0)
	v_mfma_f32_32x32x2_f32 v[2:17], v80, v48, v[2:17]
	v_mfma_f32_32x32x2_f32 v[2:17], v81, v50, v[2:17]
	.loc	1 147 12                        ; mm_aot.py:147:12
	ds_read2st64_b32 v[80:81], v63 offset0:40 offset1:42
	.loc	1 151 25                        ; mm_aot.py:151:25
	s_waitcnt lgkmcnt(0)
	v_mfma_f32_32x32x2_f32 v[2:17], v80, v45, v[2:17]
	.loc	1 147 12                        ; mm_aot.py:147:12
	ds_read2st64_b32 v[44:45], v63 offset0:44 offset1:46
	.loc	1 151 25                        ; mm_aot.py:151:25
	v_mfma_f32_32x32x2_f32 v[2:17], v81, v47, v[2:17]
	s_waitcnt lgkmcnt(0)
	v_mfma_f32_32x32x2_f32 v[2:17], v44, v49, v[2:17]
	v_mfma_f32_32x32x2_f32 v[2:17], v45, v51, v[2:17]
	.loc	1 147 12                        ; mm_aot.py:147:12
	ds_read2st64_b32 v[44:45], v63 offset0:48 offset1:50
	.loc	1 151 25                        ; mm_aot.py:151:25
	s_waitcnt lgkmcnt(0)
	v_mfma_f32_32x32x2_f32 v[2:17], v44, v38, v[2:17]
	v_mfma_f32_32x32x2_f32 v[2:17], v45, v40, v[2:17]
	.loc	1 147 12                        ; mm_aot.py:147:12
	ds_read2st64_b32 v[44:45], v63 offset0:52 offset1:54
	.loc	1 151 25                        ; mm_aot.py:151:25
	;; [unrolled: 6-line block ×3, first 2 shown]
	s_waitcnt lgkmcnt(0)
	v_mfma_f32_32x32x2_f32 v[2:17], v44, v39, v[2:17]
	.loc	1 147 12                        ; mm_aot.py:147:12
	ds_read2st64_b32 v[38:39], v63 offset0:60 offset1:62
	.loc	1 142 12                        ; mm_aot.py:142:12
	s_waitcnt lgkmcnt(0)
	s_barrier
	s_waitcnt vmcnt(0)
	ds_write2st64_b32 v56, v65, v67 offset1:8
	ds_write2st64_b32 v56, v69, v71 offset0:16 offset1:24
	ds_write2st64_b32 v57, v64, v66 offset0:4 offset1:12
	;; [unrolled: 1-line block ×3, first 2 shown]
	.loc	1 147 12                        ; mm_aot.py:147:12
	ds_write2st64_b32 v58, v72, v73 offset0:32 offset1:36
	ds_write2st64_b32 v58, v74, v75 offset0:40 offset1:44
	;; [unrolled: 1-line block ×4, first 2 shown]
	.loc	1 151 25                        ; mm_aot.py:151:25
	v_mfma_f32_32x32x2_f32 v[2:17], v45, v41, v[2:17]
	v_mfma_f32_32x32x2_f32 v[2:17], v38, v43, v[2:17]
	;; [unrolled: 1-line block ×3, first 2 shown]
	.loc	1 138 31                        ; mm_aot.py:138:31
	s_cbranch_scc1 .LBB0_111
; %bb.76:                               ; %.peel.next
	v_or_b32_e32 v64, 64, v53
	s_branch .LBB0_79
.LBB0_77:                               ;   in Loop: Header=BB0_79 Depth=1
	.loc	1 147 31                        ; mm_aot.py:147:31
	s_mul_hi_i32 s1, s0, s9
	s_mul_i32 s0, s0, s9
	.loc	1 147 17 is_stmt 0              ; mm_aot.py:147:17
	v_lshl_add_u64 v[80:81], s[0:1], 2, v[34:35]
	.loc	1 147 12                        ; mm_aot.py:147:12
	global_load_dword v80, v[80:81], off
.LBB0_78:                               ;   in Loop: Header=BB0_79 Depth=1
	ds_read2st64_b32 v[82:83], v63 offset0:32 offset1:34
	.loc	1 138 31 is_stmt 1              ; mm_aot.py:138:31
	s_add_i32 s0, s2, 32
	s_add_i32 s1, s2, 64
	s_cmp_lt_i32 s1, s26
	s_mov_b32 s2, s0
	.loc	1 151 25                        ; mm_aot.py:151:25
	s_waitcnt lgkmcnt(0)
	v_mfma_f32_32x32x2_f32 v[2:17], v82, v48, v[2:17]
	v_mfma_f32_32x32x2_f32 v[2:17], v83, v50, v[2:17]
	.loc	1 147 12                        ; mm_aot.py:147:12
	ds_read2st64_b32 v[82:83], v63 offset0:36 offset1:38
	.loc	1 151 25                        ; mm_aot.py:151:25
	s_waitcnt lgkmcnt(0)
	v_mfma_f32_32x32x2_f32 v[2:17], v82, v44, v[2:17]
	v_mfma_f32_32x32x2_f32 v[2:17], v83, v46, v[2:17]
	.loc	1 147 12                        ; mm_aot.py:147:12
	ds_read2st64_b32 v[82:83], v63 offset0:40 offset1:42
	.loc	1 151 25                        ; mm_aot.py:151:25
	s_waitcnt lgkmcnt(0)
	v_mfma_f32_32x32x2_f32 v[2:17], v82, v49, v[2:17]
	.loc	1 147 12                        ; mm_aot.py:147:12
	ds_read2st64_b32 v[48:49], v63 offset0:44 offset1:46
	.loc	1 151 25                        ; mm_aot.py:151:25
	v_mfma_f32_32x32x2_f32 v[2:17], v83, v51, v[2:17]
	s_waitcnt lgkmcnt(0)
	v_mfma_f32_32x32x2_f32 v[2:17], v48, v45, v[2:17]
	.loc	1 147 12                        ; mm_aot.py:147:12
	ds_read2st64_b32 v[44:45], v63 offset0:48 offset1:50
	.loc	1 151 25                        ; mm_aot.py:151:25
	v_mfma_f32_32x32x2_f32 v[2:17], v49, v47, v[2:17]
	s_waitcnt lgkmcnt(0)
	v_mfma_f32_32x32x2_f32 v[2:17], v44, v40, v[2:17]
	v_mfma_f32_32x32x2_f32 v[2:17], v45, v42, v[2:17]
	.loc	1 147 12                        ; mm_aot.py:147:12
	ds_read2st64_b32 v[44:45], v63 offset0:52 offset1:54
	.loc	1 151 25                        ; mm_aot.py:151:25
	s_waitcnt lgkmcnt(0)
	v_mfma_f32_32x32x2_f32 v[2:17], v44, v38, v[2:17]
	v_mfma_f32_32x32x2_f32 v[2:17], v45, v36, v[2:17]
	.loc	1 147 12                        ; mm_aot.py:147:12
	ds_read2st64_b32 v[44:45], v63 offset0:56 offset1:58
	.loc	1 151 25                        ; mm_aot.py:151:25
	s_waitcnt lgkmcnt(0)
	v_mfma_f32_32x32x2_f32 v[2:17], v44, v41, v[2:17]
	.loc	1 147 12                        ; mm_aot.py:147:12
	ds_read2st64_b32 v[40:41], v63 offset0:60 offset1:62
	.loc	1 142 12                        ; mm_aot.py:142:12
	s_waitcnt lgkmcnt(0)
	s_barrier
	s_waitcnt vmcnt(0)
	ds_write2st64_b32 v56, v66, v68 offset1:8
	ds_write2st64_b32 v56, v70, v72 offset0:16 offset1:24
	ds_write2st64_b32 v57, v65, v67 offset0:4 offset1:12
	;; [unrolled: 1-line block ×3, first 2 shown]
	.loc	1 147 12                        ; mm_aot.py:147:12
	ds_write2st64_b32 v58, v73, v74 offset0:32 offset1:36
	ds_write2st64_b32 v58, v75, v76 offset0:40 offset1:44
	;; [unrolled: 1-line block ×4, first 2 shown]
	.loc	1 151 25                        ; mm_aot.py:151:25
	v_mfma_f32_32x32x2_f32 v[2:17], v45, v43, v[2:17]
	v_mfma_f32_32x32x2_f32 v[2:17], v40, v39, v[2:17]
	;; [unrolled: 1-line block ×3, first 2 shown]
	.loc	1 138 31                        ; mm_aot.py:138:31
	s_cbranch_scc0 .LBB0_111
.LBB0_79:                               ; =>This Inner Loop Header: Depth=1
	.loc	1 139 24                        ; mm_aot.py:139:24
	v_add_u32_e32 v36, s2, v64
	.loc	1 140 22                        ; mm_aot.py:140:22
	v_cmp_gt_i32_e32 vcc, s7, v36
	.loc	1 142 58                        ; mm_aot.py:142:58
	v_mad_i64_i32 v[36:37], s[0:1], v36, s9, 0
	v_mov_b32_e32 v65, 0
	v_mov_b32_e32 v66, 0
	.loc	1 142 12 is_stmt 0              ; mm_aot.py:142:12
	s_and_saveexec_b64 s[0:1], vcc
	s_cbranch_execz .LBB0_81
; %bb.80:                               ;   in Loop: Header=BB0_79 Depth=1
	.loc	1 0 12                          ; mm_aot.py:0:12
	v_lshl_add_u64 v[38:39], v[36:37], 2, v[18:19]
	.loc	1 142 12                        ; mm_aot.py:142:12
	global_load_dword v66, v[38:39], off
.LBB0_81:                               ;   in Loop: Header=BB0_79 Depth=1
	.loc	1 0 12                          ; mm_aot.py:0:12
	s_or_b64 exec, exec, s[0:1]
	.loc	1 142 12                        ; mm_aot.py:142:12
	s_and_saveexec_b64 s[0:1], vcc
	s_cbranch_execz .LBB0_83
; %bb.82:                               ;   in Loop: Header=BB0_79 Depth=1
	.loc	1 142 17                        ; mm_aot.py:142:17
	v_lshl_add_u64 v[38:39], v[36:37], 2, v[20:21]
	.loc	1 142 12                        ; mm_aot.py:142:12
	global_load_dword v65, v[38:39], off
.LBB0_83:                               ;   in Loop: Header=BB0_79 Depth=1
	.loc	1 0 12                          ; mm_aot.py:0:12
	s_or_b64 exec, exec, s[0:1]
	v_mov_b32_e32 v67, 0
	v_mov_b32_e32 v68, 0
	.loc	1 142 12                        ; mm_aot.py:142:12
	s_and_saveexec_b64 s[0:1], vcc
	s_cbranch_execz .LBB0_85
; %bb.84:                               ;   in Loop: Header=BB0_79 Depth=1
	.loc	1 142 17                        ; mm_aot.py:142:17
	v_lshl_add_u64 v[38:39], v[36:37], 2, v[22:23]
	.loc	1 142 12                        ; mm_aot.py:142:12
	global_load_dword v68, v[38:39], off
.LBB0_85:                               ;   in Loop: Header=BB0_79 Depth=1
	.loc	1 0 12                          ; mm_aot.py:0:12
	s_or_b64 exec, exec, s[0:1]
	.loc	1 142 12                        ; mm_aot.py:142:12
	s_and_saveexec_b64 s[0:1], vcc
	s_cbranch_execz .LBB0_87
; %bb.86:                               ;   in Loop: Header=BB0_79 Depth=1
	.loc	1 142 17                        ; mm_aot.py:142:17
	v_lshl_add_u64 v[38:39], v[36:37], 2, v[24:25]
	.loc	1 142 12                        ; mm_aot.py:142:12
	global_load_dword v67, v[38:39], off
.LBB0_87:                               ;   in Loop: Header=BB0_79 Depth=1
	.loc	1 0 12                          ; mm_aot.py:0:12
	s_or_b64 exec, exec, s[0:1]
	v_mov_b32_e32 v69, 0
	v_mov_b32_e32 v70, 0
	.loc	1 142 12                        ; mm_aot.py:142:12
	s_and_saveexec_b64 s[0:1], vcc
	s_cbranch_execz .LBB0_89
; %bb.88:                               ;   in Loop: Header=BB0_79 Depth=1
	.loc	1 142 17                        ; mm_aot.py:142:17
	v_lshl_add_u64 v[38:39], v[36:37], 2, v[26:27]
	.loc	1 142 12                        ; mm_aot.py:142:12
	global_load_dword v70, v[38:39], off
.LBB0_89:                               ;   in Loop: Header=BB0_79 Depth=1
	;; [unrolled: 24-line block ×3, first 2 shown]
	.loc	1 0 12                          ; mm_aot.py:0:12
	s_or_b64 exec, exec, s[0:1]
	.loc	1 142 12                        ; mm_aot.py:142:12
	s_and_saveexec_b64 s[0:1], vcc
	s_cbranch_execz .LBB0_95
; %bb.94:                               ;   in Loop: Header=BB0_79 Depth=1
	.loc	1 142 17                        ; mm_aot.py:142:17
	v_lshl_add_u64 v[36:37], v[36:37], 2, v[32:33]
	.loc	1 142 12                        ; mm_aot.py:142:12
	global_load_dword v71, v[36:37], off
.LBB0_95:                               ;   in Loop: Header=BB0_79 Depth=1
	.loc	1 0 12                          ; mm_aot.py:0:12
	s_or_b64 exec, exec, s[0:1]
	.loc	1 142 12                        ; mm_aot.py:142:12
	s_waitcnt lgkmcnt(0)
	s_barrier
	ds_read2_b32 v[48:49], v59 offset1:8
	ds_read2_b32 v[40:41], v59 offset0:16 offset1:24
	ds_read2_b32 v[50:51], v60 offset1:8
	ds_read2_b32 v[42:43], v60 offset0:16 offset1:24
	;; [unrolled: 2-line block ×4, first 2 shown]
	.loc	1 139 24 is_stmt 1              ; mm_aot.py:139:24
	s_add_i32 s0, s23, s2
	s_add_i32 s1, s0, 64
	.loc	1 140 22                        ; mm_aot.py:140:22
	s_cmp_ge_i32 s1, s7
	.loc	1 147 12                        ; mm_aot.py:147:12
	s_cbranch_scc1 .LBB0_103
; %bb.96:                               ;   in Loop: Header=BB0_79 Depth=1
	.loc	1 147 31 is_stmt 0              ; mm_aot.py:147:31
	s_mul_hi_i32 s29, s1, s9
	s_mul_i32 s28, s1, s9
	.loc	1 147 17                        ; mm_aot.py:147:17
	v_lshl_add_u64 v[74:75], s[28:29], 2, v[34:35]
	.loc	1 147 12                        ; mm_aot.py:147:12
	global_load_dword v73, v[74:75], off
	.loc	1 139 24 is_stmt 1              ; mm_aot.py:139:24
	s_add_i32 s1, s0, 0x44
	.loc	1 140 22                        ; mm_aot.py:140:22
	s_cmp_ge_i32 s1, s7
	.loc	1 147 12                        ; mm_aot.py:147:12
	s_cbranch_scc0 .LBB0_104
.LBB0_97:                               ;   in Loop: Header=BB0_79 Depth=1
	.loc	1 0 12 is_stmt 0                ; mm_aot.py:0:12
	v_mov_b32_e32 v74, 0
	.loc	1 139 24 is_stmt 1              ; mm_aot.py:139:24
	s_add_i32 s1, s0, 0x48
	.loc	1 140 22                        ; mm_aot.py:140:22
	s_cmp_ge_i32 s1, s7
	.loc	1 147 12                        ; mm_aot.py:147:12
	s_cbranch_scc0 .LBB0_105
.LBB0_98:                               ;   in Loop: Header=BB0_79 Depth=1
	.loc	1 0 12 is_stmt 0                ; mm_aot.py:0:12
	v_mov_b32_e32 v75, 0
	.loc	1 139 24 is_stmt 1              ; mm_aot.py:139:24
	s_add_i32 s1, s0, 0x4c
	.loc	1 140 22                        ; mm_aot.py:140:22
	s_cmp_ge_i32 s1, s7
	.loc	1 147 12                        ; mm_aot.py:147:12
	s_cbranch_scc0 .LBB0_106
.LBB0_99:                               ;   in Loop: Header=BB0_79 Depth=1
	.loc	1 0 12 is_stmt 0                ; mm_aot.py:0:12
	v_mov_b32_e32 v76, 0
	.loc	1 139 24 is_stmt 1              ; mm_aot.py:139:24
	s_add_i32 s1, s0, 0x50
	.loc	1 140 22                        ; mm_aot.py:140:22
	s_cmp_ge_i32 s1, s7
	.loc	1 147 12                        ; mm_aot.py:147:12
	s_cbranch_scc0 .LBB0_107
.LBB0_100:                              ;   in Loop: Header=BB0_79 Depth=1
	.loc	1 0 12 is_stmt 0                ; mm_aot.py:0:12
	v_mov_b32_e32 v77, 0
	.loc	1 139 24 is_stmt 1              ; mm_aot.py:139:24
	s_add_i32 s1, s0, 0x54
	.loc	1 140 22                        ; mm_aot.py:140:22
	s_cmp_ge_i32 s1, s7
	.loc	1 147 12                        ; mm_aot.py:147:12
	s_cbranch_scc0 .LBB0_108
.LBB0_101:                              ;   in Loop: Header=BB0_79 Depth=1
	.loc	1 0 12 is_stmt 0                ; mm_aot.py:0:12
	v_mov_b32_e32 v78, 0
	.loc	1 139 24 is_stmt 1              ; mm_aot.py:139:24
	s_add_i32 s1, s0, 0x58
	.loc	1 140 22                        ; mm_aot.py:140:22
	s_cmp_ge_i32 s1, s7
	.loc	1 147 12                        ; mm_aot.py:147:12
	s_cbranch_scc0 .LBB0_109
.LBB0_102:                              ;   in Loop: Header=BB0_79 Depth=1
	.loc	1 0 12 is_stmt 0                ; mm_aot.py:0:12
	v_mov_b32_e32 v79, 0
	.loc	1 139 50 is_stmt 1              ; mm_aot.py:139:50
	s_addk_i32 s0, 0x5c
	.loc	1 140 22                        ; mm_aot.py:140:22
	s_cmp_ge_i32 s0, s7
	.loc	1 147 12                        ; mm_aot.py:147:12
	s_cbranch_scc0 .LBB0_77
	s_branch .LBB0_110
.LBB0_103:                              ;   in Loop: Header=BB0_79 Depth=1
	.loc	1 0 12 is_stmt 0                ; mm_aot.py:0:12
	v_mov_b32_e32 v73, 0
	.loc	1 139 24 is_stmt 1              ; mm_aot.py:139:24
	s_add_i32 s1, s0, 0x44
	.loc	1 140 22                        ; mm_aot.py:140:22
	s_cmp_ge_i32 s1, s7
	.loc	1 147 12                        ; mm_aot.py:147:12
	s_cbranch_scc1 .LBB0_97
.LBB0_104:                              ;   in Loop: Header=BB0_79 Depth=1
	.loc	1 147 31 is_stmt 0              ; mm_aot.py:147:31
	s_mul_hi_i32 s29, s1, s9
	s_mul_i32 s28, s1, s9
	.loc	1 147 17                        ; mm_aot.py:147:17
	v_lshl_add_u64 v[74:75], s[28:29], 2, v[34:35]
	.loc	1 147 12                        ; mm_aot.py:147:12
	global_load_dword v74, v[74:75], off
	.loc	1 139 24 is_stmt 1              ; mm_aot.py:139:24
	s_add_i32 s1, s0, 0x48
	.loc	1 140 22                        ; mm_aot.py:140:22
	s_cmp_ge_i32 s1, s7
	.loc	1 147 12                        ; mm_aot.py:147:12
	s_cbranch_scc1 .LBB0_98
.LBB0_105:                              ;   in Loop: Header=BB0_79 Depth=1
	.loc	1 147 31 is_stmt 0              ; mm_aot.py:147:31
	s_mul_hi_i32 s29, s1, s9
	s_mul_i32 s28, s1, s9
	.loc	1 147 17                        ; mm_aot.py:147:17
	v_lshl_add_u64 v[76:77], s[28:29], 2, v[34:35]
	.loc	1 147 12                        ; mm_aot.py:147:12
	global_load_dword v75, v[76:77], off
	.loc	1 139 24 is_stmt 1              ; mm_aot.py:139:24
	s_add_i32 s1, s0, 0x4c
	.loc	1 140 22                        ; mm_aot.py:140:22
	s_cmp_ge_i32 s1, s7
	.loc	1 147 12                        ; mm_aot.py:147:12
	s_cbranch_scc1 .LBB0_99
.LBB0_106:                              ;   in Loop: Header=BB0_79 Depth=1
	.loc	1 147 31 is_stmt 0              ; mm_aot.py:147:31
	s_mul_hi_i32 s29, s1, s9
	s_mul_i32 s28, s1, s9
	.loc	1 147 17                        ; mm_aot.py:147:17
	v_lshl_add_u64 v[76:77], s[28:29], 2, v[34:35]
	.loc	1 147 12                        ; mm_aot.py:147:12
	global_load_dword v76, v[76:77], off
	.loc	1 139 24 is_stmt 1              ; mm_aot.py:139:24
	s_add_i32 s1, s0, 0x50
	.loc	1 140 22                        ; mm_aot.py:140:22
	s_cmp_ge_i32 s1, s7
	.loc	1 147 12                        ; mm_aot.py:147:12
	s_cbranch_scc1 .LBB0_100
.LBB0_107:                              ;   in Loop: Header=BB0_79 Depth=1
	.loc	1 147 31 is_stmt 0              ; mm_aot.py:147:31
	s_mul_hi_i32 s29, s1, s9
	s_mul_i32 s28, s1, s9
	.loc	1 147 17                        ; mm_aot.py:147:17
	v_lshl_add_u64 v[78:79], s[28:29], 2, v[34:35]
	.loc	1 147 12                        ; mm_aot.py:147:12
	global_load_dword v77, v[78:79], off
	.loc	1 139 24 is_stmt 1              ; mm_aot.py:139:24
	s_add_i32 s1, s0, 0x54
	.loc	1 140 22                        ; mm_aot.py:140:22
	s_cmp_ge_i32 s1, s7
	.loc	1 147 12                        ; mm_aot.py:147:12
	s_cbranch_scc1 .LBB0_101
.LBB0_108:                              ;   in Loop: Header=BB0_79 Depth=1
	.loc	1 147 31 is_stmt 0              ; mm_aot.py:147:31
	s_mul_hi_i32 s29, s1, s9
	s_mul_i32 s28, s1, s9
	.loc	1 147 17                        ; mm_aot.py:147:17
	v_lshl_add_u64 v[78:79], s[28:29], 2, v[34:35]
	.loc	1 147 12                        ; mm_aot.py:147:12
	global_load_dword v78, v[78:79], off
	.loc	1 139 24 is_stmt 1              ; mm_aot.py:139:24
	s_add_i32 s1, s0, 0x58
	.loc	1 140 22                        ; mm_aot.py:140:22
	s_cmp_ge_i32 s1, s7
	.loc	1 147 12                        ; mm_aot.py:147:12
	s_cbranch_scc1 .LBB0_102
.LBB0_109:                              ;   in Loop: Header=BB0_79 Depth=1
	.loc	1 147 31 is_stmt 0              ; mm_aot.py:147:31
	s_mul_hi_i32 s29, s1, s9
	s_mul_i32 s28, s1, s9
	.loc	1 147 17                        ; mm_aot.py:147:17
	v_lshl_add_u64 v[80:81], s[28:29], 2, v[34:35]
	.loc	1 147 12                        ; mm_aot.py:147:12
	global_load_dword v79, v[80:81], off
	.loc	1 139 50 is_stmt 1              ; mm_aot.py:139:50
	s_addk_i32 s0, 0x5c
	.loc	1 140 22                        ; mm_aot.py:140:22
	s_cmp_ge_i32 s0, s7
	.loc	1 147 12                        ; mm_aot.py:147:12
	s_cbranch_scc0 .LBB0_77
.LBB0_110:                              ;   in Loop: Header=BB0_79 Depth=1
	.loc	1 0 12 is_stmt 0                ; mm_aot.py:0:12
	v_mov_b32_e32 v80, 0
	.loc	1 147 12                        ; mm_aot.py:147:12
	s_branch .LBB0_78
.LBB0_111:                              ; %._crit_edge
	.loc	1 138 31 is_stmt 1              ; mm_aot.py:138:31
	s_add_i32 s7, s7, 31
	s_cmp_lt_i32 s7, 32
	.loc	1 142 12                        ; mm_aot.py:142:12
	s_waitcnt lgkmcnt(0)
	s_barrier
	.loc	1 151 25                        ; mm_aot.py:151:25
	s_cbranch_scc1 .LBB0_113
; %bb.112:
	.loc	1 147 12                        ; mm_aot.py:147:12
	s_lshl1_add_u32 s0, s25, 0
	v_lshl_add_u32 v18, v55, 3, s0
	v_lshl_add_u32 v28, v53, 2, v18
	ds_read2st64_b32 v[18:19], v28 offset0:32 offset1:34
	.loc	1 142 12                        ; mm_aot.py:142:12
	v_lshlrev_b32_e32 v21, 1, v0
	v_lshlrev_b32_e32 v20, 7, v53
	s_lshl_b32 s0, s24, 5
	v_bitop3_b32 v21, v21, v54, 28 bitop3:0x6c
	v_or3_b32 v26, s0, v20, v21
	v_add_u32_e32 v29, 0, v26
	ds_read2_b32 v[20:21], v29 offset1:8
	v_xad_u32 v30, v26, 8, 0
	.loc	1 151 25                        ; mm_aot.py:151:25
	s_waitcnt lgkmcnt(0)
	v_mfma_f32_32x32x2_f32 v[2:17], v18, v20, v[2:17]
	.loc	1 142 12                        ; mm_aot.py:142:12
	ds_read2_b32 v[22:23], v30 offset1:8
	v_xad_u32 v31, v26, 16, 0
	ds_read2_b32 v[24:25], v31 offset1:8
	v_xad_u32 v32, v26, 24, 0
	ds_read2_b32 v[26:27], v32 offset1:8
	.loc	1 151 25                        ; mm_aot.py:151:25
	s_waitcnt lgkmcnt(2)
	v_mfma_f32_32x32x2_f32 v[2:17], v19, v22, v[2:17]
	.loc	1 147 12                        ; mm_aot.py:147:12
	ds_read2st64_b32 v[18:19], v28 offset0:36 offset1:38
	.loc	1 151 25                        ; mm_aot.py:151:25
	s_waitcnt lgkmcnt(0)
	v_mfma_f32_32x32x2_f32 v[2:17], v18, v24, v[2:17]
	v_mfma_f32_32x32x2_f32 v[2:17], v19, v26, v[2:17]
	.loc	1 147 12                        ; mm_aot.py:147:12
	ds_read2st64_b32 v[18:19], v28 offset0:40 offset1:42
	.loc	1 151 25                        ; mm_aot.py:151:25
	s_waitcnt lgkmcnt(0)
	v_mfma_f32_32x32x2_f32 v[2:17], v18, v21, v[2:17]
	v_mfma_f32_32x32x2_f32 v[2:17], v19, v23, v[2:17]
	.loc	1 147 12                        ; mm_aot.py:147:12
	ds_read2st64_b32 v[18:19], v28 offset0:44 offset1:46
	.loc	1 142 12                        ; mm_aot.py:142:12
	ds_read2_b32 v[22:23], v30 offset0:16 offset1:24
	.loc	1 151 25                        ; mm_aot.py:151:25
	s_waitcnt lgkmcnt(1)
	v_mfma_f32_32x32x2_f32 v[2:17], v18, v25, v[2:17]
	v_mfma_f32_32x32x2_f32 v[2:17], v19, v27, v[2:17]
	.loc	1 147 12                        ; mm_aot.py:147:12
	ds_read2st64_b32 v[18:19], v28 offset0:48 offset1:50
	.loc	1 142 12                        ; mm_aot.py:142:12
	ds_read2_b32 v[20:21], v29 offset0:16 offset1:24
	ds_read2_b32 v[26:27], v32 offset0:16 offset1:24
	.loc	1 151 25                        ; mm_aot.py:151:25
	s_waitcnt lgkmcnt(1)
	v_mfma_f32_32x32x2_f32 v[2:17], v18, v20, v[2:17]
	v_mfma_f32_32x32x2_f32 v[2:17], v19, v22, v[2:17]
	.loc	1 147 12                        ; mm_aot.py:147:12
	ds_read2st64_b32 v[18:19], v28 offset0:52 offset1:54
	.loc	1 142 12                        ; mm_aot.py:142:12
	ds_read2_b32 v[24:25], v31 offset0:16 offset1:24
	.loc	1 151 25                        ; mm_aot.py:151:25
	s_waitcnt lgkmcnt(0)
	v_mfma_f32_32x32x2_f32 v[2:17], v18, v24, v[2:17]
	v_mfma_f32_32x32x2_f32 v[2:17], v19, v26, v[2:17]
	.loc	1 147 12                        ; mm_aot.py:147:12
	ds_read2st64_b32 v[18:19], v28 offset0:56 offset1:58
	.loc	1 151 25                        ; mm_aot.py:151:25
	s_waitcnt lgkmcnt(0)
	v_mfma_f32_32x32x2_f32 v[2:17], v18, v21, v[2:17]
	v_mfma_f32_32x32x2_f32 v[2:17], v19, v23, v[2:17]
	.loc	1 147 12                        ; mm_aot.py:147:12
	ds_read2st64_b32 v[18:19], v28 offset0:60 offset1:62
	.loc	1 151 25                        ; mm_aot.py:151:25
	s_waitcnt lgkmcnt(0)
	v_mfma_f32_32x32x2_f32 v[2:17], v18, v25, v[2:17]
	v_mfma_f32_32x32x2_f32 v[2:17], v19, v27, v[2:17]
.LBB0_113:                              ; %._crit_edge._crit_edge
	.loc	1 130 40                        ; mm_aot.py:130:40
	s_lshr_b32 s0, s24, 2
	s_lshr_b32 s1, s25, 1
	.loc	1 130 27 is_stmt 0              ; mm_aot.py:130:27
	v_or_b32_e32 v19, s0, v53
	.loc	1 130 40                        ; mm_aot.py:130:40
	v_or_b32_e32 v18, s1, v54
	.loc	1 130 27                        ; mm_aot.py:130:27
	v_or_b32_e32 v21, s15, v19
	.loc	1 131 27 is_stmt 1              ; mm_aot.py:131:27
	v_or_b32_e32 v20, s12, v18
	.loc	1 154 31                        ; mm_aot.py:154:31
	v_mad_i64_i32 v[18:19], s[0:1], v21, s10, 0
	.loc	1 155 17                        ; mm_aot.py:155:17
	v_cmp_gt_i32_e32 vcc, s6, v21
	.loc	1 155 37 is_stmt 0              ; mm_aot.py:155:37
	v_cmp_gt_i32_e64 s[0:1], s6, v20
	.loc	1 154 17 is_stmt 1              ; mm_aot.py:154:17
	v_lshl_add_u64 v[18:19], v[18:19], 2, s[4:5]
	.loc	1 155 31                        ; mm_aot.py:155:31
	s_and_b64 s[2:3], vcc, s[0:1]
	.loc	1 156 20                        ; mm_aot.py:156:20
	s_and_saveexec_b64 s[0:1], s[2:3]
	s_cbranch_execz .LBB0_115
; %bb.114:
	.loc	1 154 57                        ; mm_aot.py:154:57
	v_mad_i64_i32 v[22:23], s[2:3], v20, s11, 0
	.loc	1 154 17 is_stmt 0              ; mm_aot.py:154:17
	v_lshl_add_u64 v[22:23], v[22:23], 2, v[18:19]
	.loc	1 156 20 is_stmt 1              ; mm_aot.py:156:20
	s_nop 2
	global_store_dword v[22:23], v2, off
.LBB0_115:
	.loc	1 0 20 is_stmt 0                ; mm_aot.py:0:20
	s_or_b64 exec, exec, s[0:1]
	.loc	1 131 27 is_stmt 1              ; mm_aot.py:131:27
	v_or_b32_e32 v22, 1, v20
	.loc	1 155 37                        ; mm_aot.py:155:37
	v_cmp_gt_i32_e64 s[0:1], s6, v22
	.loc	1 155 31 is_stmt 0              ; mm_aot.py:155:31
	s_and_b64 s[2:3], vcc, s[0:1]
	.loc	1 156 20 is_stmt 1              ; mm_aot.py:156:20
	s_and_saveexec_b64 s[0:1], s[2:3]
	s_cbranch_execz .LBB0_117
; %bb.116:
	.loc	1 154 57                        ; mm_aot.py:154:57
	v_mad_i64_i32 v[22:23], s[2:3], v22, s11, 0
	.loc	1 154 17 is_stmt 0              ; mm_aot.py:154:17
	v_lshl_add_u64 v[22:23], v[22:23], 2, v[18:19]
	.loc	1 156 20 is_stmt 1              ; mm_aot.py:156:20
	global_store_dword v[22:23], v3, off
.LBB0_117:
	.loc	1 0 20 is_stmt 0                ; mm_aot.py:0:20
	s_or_b64 exec, exec, s[0:1]
	.loc	1 131 27 is_stmt 1              ; mm_aot.py:131:27
	v_or_b32_e32 v22, 2, v20
	.loc	1 155 37                        ; mm_aot.py:155:37
	v_cmp_gt_i32_e64 s[0:1], s6, v22
	.loc	1 155 31 is_stmt 0              ; mm_aot.py:155:31
	s_and_b64 s[2:3], vcc, s[0:1]
	.loc	1 156 20 is_stmt 1              ; mm_aot.py:156:20
	s_and_saveexec_b64 s[0:1], s[2:3]
	s_cbranch_execz .LBB0_119
; %bb.118:
	.loc	1 154 57                        ; mm_aot.py:154:57
	v_mad_i64_i32 v[22:23], s[2:3], v22, s11, 0
	.loc	1 154 17 is_stmt 0              ; mm_aot.py:154:17
	v_lshl_add_u64 v[22:23], v[22:23], 2, v[18:19]
	.loc	1 156 20 is_stmt 1              ; mm_aot.py:156:20
	global_store_dword v[22:23], v4, off
.LBB0_119:
	;; [unrolled: 19-line block ×15, first 2 shown]
	.loc	1 0 20 is_stmt 0                ; mm_aot.py:0:20
	s_or_b64 exec, exec, s[0:1]
	.loc	1 158 15 is_stmt 1              ; mm_aot.py:158:15
	s_cmp_le_i32 s14, s16
	.loc	1 158 7 is_stmt 0               ; mm_aot.py:158:7
	s_cbranch_scc1 .LBB0_178
; %bb.146:
	.loc	1 131 27 is_stmt 1              ; mm_aot.py:131:27
	s_or_b32 s2, s23, s12
	.loc	1 155 37                        ; mm_aot.py:155:37
	s_cmp_lt_i32 s2, s6
	s_cselect_b64 s[0:1], -1, 0
	.loc	1 161 26                        ; mm_aot.py:161:26
	v_lshlrev_b32_e32 v19, 4, v0
	v_lshlrev_b32_e32 v0, 8, v0
	s_lshl_b32 s3, s24, 6
	v_lshlrev_b32_e32 v1, 5, v1
	v_and_b32_e32 v20, 0x1000, v0
	s_add_i32 s3, s3, 0
	v_and_b32_e32 v1, 0xc00, v1
	v_and_b32_e32 v19, 0xf0, v19
	v_add_u32_e32 v20, s3, v20
	v_add3_u32 v1, v20, v1, v19
	v_mov_b32_e32 v20, v2
	v_mov_b32_e32 v21, v6
	;; [unrolled: 1-line block ×4, first 2 shown]
	s_waitcnt lgkmcnt(0)
	s_barrier
	ds_write_b128 v1, v[20:23]
	v_mov_b32_e32 v20, v3
	v_mov_b32_e32 v21, v7
	;; [unrolled: 1-line block ×4, first 2 shown]
	v_and_b32_e32 v0, 0x3000, v0
	s_lshl2_add_u32 s3, s13, 0
	ds_write_b128 v1, v[20:23] offset:256
	v_mov_b32_e32 v20, v4
	v_mov_b32_e32 v21, v8
	;; [unrolled: 1-line block ×7, first 2 shown]
	v_add3_u32 v0, s3, v0, v19
	ds_write_b128 v1, v[20:23] offset:512
	ds_write_b128 v1, v[8:11] offset:768
	s_waitcnt lgkmcnt(0)
	s_barrier
	ds_read_b128 v[14:17], v0
	ds_read_b128 v[10:13], v0 offset:1024
	ds_read_b128 v[6:9], v0 offset:2048
	;; [unrolled: 1-line block ×3, first 2 shown]
	.loc	1 130 27                        ; mm_aot.py:130:27
	v_or_b32_e32 v18, s15, v52
	.loc	1 155 17                        ; mm_aot.py:155:17
	v_cmp_gt_i32_e32 vcc, s6, v18
	.loc	1 159 63                        ; mm_aot.py:159:63
	v_mad_i64_i32 v[0:1], s[14:15], v18, s11, 0
	.loc	1 160 37                        ; mm_aot.py:160:37
	s_and_b64 s[14:15], vcc, s[0:1]
	.loc	1 161 26                        ; mm_aot.py:161:26
	s_and_saveexec_b64 s[0:1], s[14:15]
	s_cbranch_execz .LBB0_148
; %bb.147:
	.loc	1 159 37                        ; mm_aot.py:159:37
	s_mul_hi_i32 s15, s2, s10
	s_mul_i32 s14, s2, s10
	.loc	1 159 23 is_stmt 0              ; mm_aot.py:159:23
	s_lshl_b64 s[14:15], s[14:15], 2
	s_add_u32 s14, s4, s14
	s_addc_u32 s15, s5, s15
	v_lshl_add_u64 v[18:19], v[0:1], 2, s[14:15]
	.loc	1 161 26 is_stmt 1              ; mm_aot.py:161:26
	s_waitcnt lgkmcnt(3)
	global_store_dword v[18:19], v14, off
.LBB0_148:
	.loc	1 0 26 is_stmt 0                ; mm_aot.py:0:26
	s_or_b64 exec, exec, s[0:1]
	.loc	1 131 27 is_stmt 1              ; mm_aot.py:131:27
	s_or_b32 s3, s8, s12
	.loc	1 155 37                        ; mm_aot.py:155:37
	s_cmp_lt_i32 s3, s6
	s_cselect_b64 s[0:1], -1, 0
	.loc	1 160 37                        ; mm_aot.py:160:37
	s_and_b64 s[8:9], vcc, s[0:1]
	.loc	1 161 26                        ; mm_aot.py:161:26
	s_and_saveexec_b64 s[0:1], s[8:9]
	s_cbranch_execz .LBB0_150
; %bb.149:
	.loc	1 159 37                        ; mm_aot.py:159:37
	s_mul_hi_i32 s9, s3, s10
	s_mul_i32 s8, s3, s10
	.loc	1 159 23 is_stmt 0              ; mm_aot.py:159:23
	s_lshl_b64 s[8:9], s[8:9], 2
	s_add_u32 s8, s4, s8
	s_addc_u32 s9, s5, s9
	v_lshl_add_u64 v[18:19], v[0:1], 2, s[8:9]
	.loc	1 161 26 is_stmt 1              ; mm_aot.py:161:26
	s_waitcnt lgkmcnt(2)
	global_store_dword v[18:19], v10, off
.LBB0_150:
	.loc	1 0 26 is_stmt 0                ; mm_aot.py:0:26
	s_or_b64 exec, exec, s[0:1]
	.loc	1 131 27 is_stmt 1              ; mm_aot.py:131:27
	s_or_b32 s3, s17, s12
	.loc	1 155 37                        ; mm_aot.py:155:37
	s_cmp_lt_i32 s3, s6
	s_cselect_b64 s[0:1], -1, 0
	;; [unrolled: 25-line block ×3, first 2 shown]
	.loc	1 160 37                        ; mm_aot.py:160:37
	s_and_b64 s[8:9], vcc, s[0:1]
	.loc	1 161 26                        ; mm_aot.py:161:26
	s_and_saveexec_b64 s[0:1], s[8:9]
	s_cbranch_execz .LBB0_154
; %bb.153:
	.loc	1 159 37                        ; mm_aot.py:159:37
	s_mul_hi_i32 s9, s3, s10
	s_mul_i32 s8, s3, s10
	.loc	1 159 23 is_stmt 0              ; mm_aot.py:159:23
	s_lshl_b64 s[8:9], s[8:9], 2
	s_add_u32 s8, s4, s8
	s_addc_u32 s9, s5, s9
	s_waitcnt lgkmcnt(3)
	v_lshl_add_u64 v[14:15], v[0:1], 2, s[8:9]
	.loc	1 161 26 is_stmt 1              ; mm_aot.py:161:26
	s_waitcnt lgkmcnt(2)
	global_store_dword v[14:15], v11, off
.LBB0_154:
	.loc	1 0 26 is_stmt 0                ; mm_aot.py:0:26
	s_or_b64 exec, exec, s[0:1]
	.loc	1 131 27 is_stmt 1              ; mm_aot.py:131:27
	s_or_b32 s3, s19, s12
	.loc	1 155 37                        ; mm_aot.py:155:37
	s_cmp_lt_i32 s3, s6
	s_cselect_b64 s[0:1], -1, 0
	.loc	1 160 37                        ; mm_aot.py:160:37
	s_and_b64 s[8:9], vcc, s[0:1]
	.loc	1 161 26                        ; mm_aot.py:161:26
	s_and_saveexec_b64 s[0:1], s[8:9]
	s_cbranch_execz .LBB0_156
; %bb.155:
	.loc	1 159 37                        ; mm_aot.py:159:37
	s_mul_hi_i32 s9, s3, s10
	s_mul_i32 s8, s3, s10
	.loc	1 159 23 is_stmt 0              ; mm_aot.py:159:23
	s_lshl_b64 s[8:9], s[8:9], 2
	s_add_u32 s8, s4, s8
	s_addc_u32 s9, s5, s9
	s_waitcnt lgkmcnt(2)
	v_lshl_add_u64 v[10:11], v[0:1], 2, s[8:9]
	.loc	1 161 26 is_stmt 1              ; mm_aot.py:161:26
	global_store_dword v[10:11], v16, off
.LBB0_156:
	.loc	1 0 26 is_stmt 0                ; mm_aot.py:0:26
	s_or_b64 exec, exec, s[0:1]
	.loc	1 131 27 is_stmt 1              ; mm_aot.py:131:27
	s_or_b32 s3, s20, s12
	.loc	1 155 37                        ; mm_aot.py:155:37
	s_cmp_lt_i32 s3, s6
	s_cselect_b64 s[0:1], -1, 0
	.loc	1 160 37                        ; mm_aot.py:160:37
	s_and_b64 s[8:9], vcc, s[0:1]
	.loc	1 161 26                        ; mm_aot.py:161:26
	s_and_saveexec_b64 s[0:1], s[8:9]
	s_cbranch_execz .LBB0_158
; %bb.157:
	.loc	1 159 37                        ; mm_aot.py:159:37
	s_mul_hi_i32 s9, s3, s10
	s_mul_i32 s8, s3, s10
	.loc	1 159 23 is_stmt 0              ; mm_aot.py:159:23
	s_lshl_b64 s[8:9], s[8:9], 2
	s_add_u32 s8, s4, s8
	s_addc_u32 s9, s5, s9
	s_waitcnt lgkmcnt(2)
	v_lshl_add_u64 v[10:11], v[0:1], 2, s[8:9]
	.loc	1 161 26 is_stmt 1              ; mm_aot.py:161:26
	global_store_dword v[10:11], v12, off
.LBB0_158:
	;; [unrolled: 25-line block ×4, first 2 shown]
	.loc	1 0 26 is_stmt 0                ; mm_aot.py:0:26
	s_or_b64 exec, exec, s[0:1]
	.loc	1 131 27 is_stmt 1              ; mm_aot.py:131:27
	s_or_b32 s3, s2, 32
	.loc	1 155 37                        ; mm_aot.py:155:37
	s_cmp_lt_i32 s3, s6
	s_cselect_b64 s[0:1], -1, 0
	.loc	1 160 37                        ; mm_aot.py:160:37
	s_and_b64 s[8:9], vcc, s[0:1]
	.loc	1 161 26                        ; mm_aot.py:161:26
	s_and_saveexec_b64 s[0:1], s[8:9]
	s_cbranch_execz .LBB0_164
; %bb.163:
	.loc	1 159 37                        ; mm_aot.py:159:37
	s_mul_hi_i32 s9, s3, s10
	s_mul_i32 s8, s3, s10
	.loc	1 159 23 is_stmt 0              ; mm_aot.py:159:23
	s_lshl_b64 s[8:9], s[8:9], 2
	s_add_u32 s8, s4, s8
	s_addc_u32 s9, s5, s9
	s_waitcnt lgkmcnt(2)
	v_lshl_add_u64 v[10:11], v[0:1], 2, s[8:9]
	.loc	1 161 26 is_stmt 1              ; mm_aot.py:161:26
	s_waitcnt lgkmcnt(1)
	global_store_dword v[10:11], v6, off
.LBB0_164:
	.loc	1 0 26 is_stmt 0                ; mm_aot.py:0:26
	s_or_b64 exec, exec, s[0:1]
	.loc	1 131 27 is_stmt 1              ; mm_aot.py:131:27
	s_or_b32 s3, s2, 36
	.loc	1 155 37                        ; mm_aot.py:155:37
	s_cmp_lt_i32 s3, s6
	s_cselect_b64 s[0:1], -1, 0
	.loc	1 160 37                        ; mm_aot.py:160:37
	s_and_b64 s[8:9], vcc, s[0:1]
	.loc	1 161 26                        ; mm_aot.py:161:26
	s_and_saveexec_b64 s[0:1], s[8:9]
	s_cbranch_execz .LBB0_166
; %bb.165:
	.loc	1 159 37                        ; mm_aot.py:159:37
	s_mul_hi_i32 s9, s3, s10
	s_mul_i32 s8, s3, s10
	.loc	1 159 23 is_stmt 0              ; mm_aot.py:159:23
	s_lshl_b64 s[8:9], s[8:9], 2
	s_add_u32 s8, s4, s8
	s_addc_u32 s9, s5, s9
	s_waitcnt lgkmcnt(2)
	v_lshl_add_u64 v[10:11], v[0:1], 2, s[8:9]
	.loc	1 161 26 is_stmt 1              ; mm_aot.py:161:26
	s_waitcnt lgkmcnt(0)
	global_store_dword v[10:11], v2, off
.LBB0_166:
	;; [unrolled: 26-line block ×4, first 2 shown]
	.loc	1 0 26 is_stmt 0                ; mm_aot.py:0:26
	s_or_b64 exec, exec, s[0:1]
	.loc	1 131 27 is_stmt 1              ; mm_aot.py:131:27
	s_or_b32 s3, s2, 48
	.loc	1 155 37                        ; mm_aot.py:155:37
	s_cmp_lt_i32 s3, s6
	s_cselect_b64 s[0:1], -1, 0
	.loc	1 160 37                        ; mm_aot.py:160:37
	s_and_b64 s[8:9], vcc, s[0:1]
	.loc	1 161 26                        ; mm_aot.py:161:26
	s_and_saveexec_b64 s[0:1], s[8:9]
	s_cbranch_execz .LBB0_172
; %bb.171:
	.loc	1 159 37                        ; mm_aot.py:159:37
	s_mul_hi_i32 s9, s3, s10
	s_mul_i32 s8, s3, s10
	.loc	1 159 23 is_stmt 0              ; mm_aot.py:159:23
	s_lshl_b64 s[8:9], s[8:9], 2
	s_add_u32 s8, s4, s8
	s_addc_u32 s9, s5, s9
	s_waitcnt lgkmcnt(0)
	v_lshl_add_u64 v[2:3], v[0:1], 2, s[8:9]
	.loc	1 161 26 is_stmt 1              ; mm_aot.py:161:26
	global_store_dword v[2:3], v8, off
.LBB0_172:
	.loc	1 0 26 is_stmt 0                ; mm_aot.py:0:26
	s_or_b64 exec, exec, s[0:1]
	.loc	1 131 27 is_stmt 1              ; mm_aot.py:131:27
	s_or_b32 s3, s2, 52
	.loc	1 155 37                        ; mm_aot.py:155:37
	s_cmp_lt_i32 s3, s6
	s_cselect_b64 s[0:1], -1, 0
	.loc	1 160 37                        ; mm_aot.py:160:37
	s_and_b64 s[8:9], vcc, s[0:1]
	.loc	1 161 26                        ; mm_aot.py:161:26
	s_and_saveexec_b64 s[0:1], s[8:9]
	s_cbranch_execz .LBB0_174
; %bb.173:
	.loc	1 159 37                        ; mm_aot.py:159:37
	s_mul_hi_i32 s9, s3, s10
	s_mul_i32 s8, s3, s10
	.loc	1 159 23 is_stmt 0              ; mm_aot.py:159:23
	s_lshl_b64 s[8:9], s[8:9], 2
	s_add_u32 s8, s4, s8
	s_addc_u32 s9, s5, s9
	s_waitcnt lgkmcnt(0)
	v_lshl_add_u64 v[2:3], v[0:1], 2, s[8:9]
	.loc	1 161 26 is_stmt 1              ; mm_aot.py:161:26
	global_store_dword v[2:3], v4, off
.LBB0_174:
	;; [unrolled: 25-line block ×3, first 2 shown]
	.loc	1 0 26 is_stmt 0                ; mm_aot.py:0:26
	s_or_b64 exec, exec, s[0:1]
	.loc	1 131 27 is_stmt 1              ; mm_aot.py:131:27
	s_or_b32 s0, s2, 60
	.loc	1 155 37                        ; mm_aot.py:155:37
	s_cmp_lt_i32 s0, s6
	s_cselect_b64 s[2:3], -1, 0
	.loc	1 160 37                        ; mm_aot.py:160:37
	s_and_b64 s[2:3], vcc, s[2:3]
	.loc	1 161 26                        ; mm_aot.py:161:26
	s_and_saveexec_b64 s[6:7], s[2:3]
	s_cbranch_execz .LBB0_178
; %bb.177:
	.loc	1 159 37                        ; mm_aot.py:159:37
	s_mul_hi_i32 s1, s0, s10
	s_mul_i32 s0, s0, s10
	.loc	1 159 23 is_stmt 0              ; mm_aot.py:159:23
	s_lshl_b64 s[0:1], s[0:1], 2
	s_add_u32 s0, s4, s0
	s_addc_u32 s1, s5, s1
	v_lshl_add_u64 v[0:1], v[0:1], 2, s[0:1]
	.loc	1 161 26 is_stmt 1              ; mm_aot.py:161:26
	s_waitcnt lgkmcnt(0)
	global_store_dword v[0:1], v5, off
.LBB0_178:
	.loc	1 158 4                         ; mm_aot.py:158:4
	s_endpgm
.Ltmp2:
	.section	.rodata,"a",@progbits
	.p2align	6, 0x0
	.amdhsa_kernel mm_kernel_syrk
		.amdhsa_group_segment_fixed_size 0
		.amdhsa_private_segment_fixed_size 0
		.amdhsa_kernarg_size 56
		.amdhsa_user_sgpr_count 16
		.amdhsa_user_sgpr_dispatch_ptr 0
		.amdhsa_user_sgpr_queue_ptr 0
		.amdhsa_user_sgpr_kernarg_segment_ptr 1
		.amdhsa_user_sgpr_dispatch_id 0
		.amdhsa_user_sgpr_kernarg_preload_length 14
		.amdhsa_user_sgpr_kernarg_preload_offset 0
		.amdhsa_user_sgpr_private_segment_size 0
		.amdhsa_uses_dynamic_stack 0
		.amdhsa_enable_private_segment 0
		.amdhsa_system_sgpr_workgroup_id_x 1
		.amdhsa_system_sgpr_workgroup_id_y 0
		.amdhsa_system_sgpr_workgroup_id_z 0
		.amdhsa_system_sgpr_workgroup_info 0
		.amdhsa_system_vgpr_workitem_id 0
		.amdhsa_next_free_vgpr 84
		.amdhsa_next_free_sgpr 30
		.amdhsa_accum_offset 84
		.amdhsa_reserve_vcc 1
		.amdhsa_reserve_xnack_mask 1
		.amdhsa_float_round_mode_32 0
		.amdhsa_float_round_mode_16_64 0
		.amdhsa_float_denorm_mode_32 3
		.amdhsa_float_denorm_mode_16_64 3
		.amdhsa_dx10_clamp 1
		.amdhsa_ieee_mode 1
		.amdhsa_fp16_overflow 0
		.amdhsa_tg_split 0
		.amdhsa_exception_fp_ieee_invalid_op 0
		.amdhsa_exception_fp_denorm_src 0
		.amdhsa_exception_fp_ieee_div_zero 0
		.amdhsa_exception_fp_ieee_overflow 0
		.amdhsa_exception_fp_ieee_underflow 0
		.amdhsa_exception_fp_ieee_inexact 0
		.amdhsa_exception_int_div_zero 0
	.end_amdhsa_kernel
	.text
.Lfunc_end0:
	.size	mm_kernel_syrk, .Lfunc_end0-mm_kernel_syrk
	.cfi_endproc
                                        ; -- End function
	.set mm_kernel_syrk.num_vgpr, 84
	.set mm_kernel_syrk.num_agpr, 0
	.set mm_kernel_syrk.numbered_sgpr, 30
	.set mm_kernel_syrk.num_named_barrier, 0
	.set mm_kernel_syrk.private_seg_size, 0
	.set mm_kernel_syrk.uses_vcc, 1
	.set mm_kernel_syrk.uses_flat_scratch, 0
	.set mm_kernel_syrk.has_dyn_sized_stack, 0
	.set mm_kernel_syrk.has_recursion, 0
	.set mm_kernel_syrk.has_indirect_call, 0
	.section	.AMDGPU.csdata,"",@progbits
; Kernel info:
; codeLenInByte = 7244
; TotalNumSgprs: 36
; NumVgprs: 84
; NumAgprs: 0
; TotalNumVgprs: 84
; ScratchSize: 0
; MemoryBound: 0
; FloatMode: 240
; IeeeMode: 1
; LDSByteSize: 0 bytes/workgroup (compile time only)
; SGPRBlocks: 4
; VGPRBlocks: 10
; NumSGPRsForWavesPerEU: 36
; NumVGPRsForWavesPerEU: 84
; AccumOffset: 84
; Occupancy: 5
; WaveLimiterHint : 0
; COMPUTE_PGM_RSRC2:SCRATCH_EN: 0
; COMPUTE_PGM_RSRC2:USER_SGPR: 16
; COMPUTE_PGM_RSRC2:TRAP_HANDLER: 0
; COMPUTE_PGM_RSRC2:TGID_X_EN: 1
; COMPUTE_PGM_RSRC2:TGID_Y_EN: 0
; COMPUTE_PGM_RSRC2:TGID_Z_EN: 0
; COMPUTE_PGM_RSRC2:TIDIG_COMP_CNT: 0
; COMPUTE_PGM_RSRC3_GFX90A:ACCUM_OFFSET: 20
; COMPUTE_PGM_RSRC3_GFX90A:TG_SPLIT: 0
	.text
	.p2alignl 6, 3212836864
	.fill 256, 4, 3212836864
	.section	.AMDGPU.gpr_maximums,"",@progbits
	.set amdgpu.max_num_vgpr, 0
	.set amdgpu.max_num_agpr, 0
	.set amdgpu.max_num_sgpr, 0
	.set amdgpu.max_num_named_barrier, 0
	.text
	.section	.debug_abbrev,"",@progbits
	.byte	1                               ; Abbreviation Code
	.byte	17                              ; DW_TAG_compile_unit
	.byte	0                               ; DW_CHILDREN_no
	.byte	37                              ; DW_AT_producer
	.byte	14                              ; DW_FORM_strp
	.byte	19                              ; DW_AT_language
	.byte	5                               ; DW_FORM_data2
	.byte	3                               ; DW_AT_name
	.byte	14                              ; DW_FORM_strp
	.byte	16                              ; DW_AT_stmt_list
	.byte	23                              ; DW_FORM_sec_offset
	.byte	27                              ; DW_AT_comp_dir
	.byte	14                              ; DW_FORM_strp
	.byte	17                              ; DW_AT_low_pc
	.byte	1                               ; DW_FORM_addr
	.byte	18                              ; DW_AT_high_pc
	.byte	6                               ; DW_FORM_data4
	.byte	0                               ; EOM(1)
	.byte	0                               ; EOM(2)
	;; [unrolled: 1-line block ×3, first 2 shown]
	.section	.debug_info,"",@progbits
.Lcu_begin0:
	.long	.Ldebug_info_end0-.Ldebug_info_start0 ; Length of Unit
.Ldebug_info_start0:
	.short	4                               ; DWARF version number
	.long	.debug_abbrev                   ; Offset Into Abbrev. Section
	.byte	8                               ; Address Size (in bytes)
	.byte	1                               ; Abbrev [1] 0xb:0x1f DW_TAG_compile_unit
	.long	.Linfo_string0                  ; DW_AT_producer
	.short	2                               ; DW_AT_language
	.long	.Linfo_string1                  ; DW_AT_name
	.long	.Lline_table_start0             ; DW_AT_stmt_list
	.long	.Linfo_string2                  ; DW_AT_comp_dir
	.quad	.Lfunc_begin0                   ; DW_AT_low_pc
	.long	.Lfunc_end0-.Lfunc_begin0       ; DW_AT_high_pc
.Ldebug_info_end0:
	.section	.debug_str,"MS",@progbits,1
.Linfo_string0:
	.asciz	"triton"                        ; string offset=0
.Linfo_string1:
	.asciz	"mm_aot.py"                     ; string offset=7
.Linfo_string2:
	.asciz	"/root/src/amdgpu-assembly/repos/FlagOpen__FlagGems/triton_aot_kernels" ; string offset=17
	.section	".note.GNU-stack","",@progbits
	.amdgpu_metadata
---
amdhsa.kernels:
  - .agpr_count:     0
    .args:
      - .address_space:  global
        .offset:         0
        .size:           8
        .value_kind:     global_buffer
      - .address_space:  global
        .offset:         8
        .size:           8
        .value_kind:     global_buffer
      - .offset:         16
        .size:           4
        .value_kind:     by_value
      - .offset:         20
        .size:           4
        .value_kind:     by_value
      - .offset:         24
        .size:           4
        .value_kind:     by_value
      - .offset:         28
        .size:           4
        .value_kind:     by_value
      - .offset:         32
        .size:           4
        .value_kind:     by_value
      - .offset:         36
        .size:           4
        .value_kind:     by_value
      - .address_space:  global
        .offset:         40
        .size:           8
        .value_kind:     global_buffer
      - .address_space:  global
        .offset:         48
        .size:           8
        .value_kind:     global_buffer
    .group_segment_fixed_size: 0
    .kernarg_segment_align: 8
    .kernarg_segment_size: 56
    .max_flat_workgroup_size: 256
    .name:           mm_kernel_syrk
    .private_segment_fixed_size: 0
    .sgpr_count:     36
    .sgpr_spill_count: 0
    .symbol:         mm_kernel_syrk.kd
    .uniform_work_group_size: 1
    .uses_dynamic_stack: false
    .vgpr_count:     84
    .vgpr_spill_count: 0
    .wavefront_size: 64
amdhsa.target:   amdgcn-amd-amdhsa--gfx950
amdhsa.version:
  - 1
  - 2
...

	.end_amdgpu_metadata
	.section	.debug_line,"",@progbits
.Lline_table_start0:
